;; amdgpu-corpus repo=ROCm/rocFFT kind=compiled arch=gfx906 opt=O3
	.text
	.amdgcn_target "amdgcn-amd-amdhsa--gfx906"
	.amdhsa_code_object_version 6
	.protected	bluestein_single_back_len567_dim1_dp_op_CI_CI ; -- Begin function bluestein_single_back_len567_dim1_dp_op_CI_CI
	.globl	bluestein_single_back_len567_dim1_dp_op_CI_CI
	.p2align	8
	.type	bluestein_single_back_len567_dim1_dp_op_CI_CI,@function
bluestein_single_back_len567_dim1_dp_op_CI_CI: ; @bluestein_single_back_len567_dim1_dp_op_CI_CI
; %bb.0:
	s_load_dwordx4 s[8:11], s[4:5], 0x28
	v_mul_u32_u24_e32 v1, 0x411, v0
	v_add_u32_sdwa v158, s6, v1 dst_sel:DWORD dst_unused:UNUSED_PAD src0_sel:DWORD src1_sel:WORD_1
	v_mov_b32_e32 v159, 0
	s_waitcnt lgkmcnt(0)
	v_cmp_gt_u64_e32 vcc, s[8:9], v[158:159]
	s_and_saveexec_b64 s[0:1], vcc
	s_cbranch_execz .LBB0_15
; %bb.1:
	s_load_dwordx4 s[0:3], s[4:5], 0x18
	v_mov_b32_e32 v2, 63
	v_mul_lo_u16_sdwa v1, v1, v2 dst_sel:DWORD dst_unused:UNUSED_PAD src0_sel:WORD_1 src1_sel:DWORD
	v_sub_u16_e32 v160, v0, v1
	v_lshlrev_b32_e32 v159, 4, v160
	s_waitcnt lgkmcnt(0)
	s_load_dwordx4 s[12:15], s[0:1], 0x0
	s_waitcnt lgkmcnt(0)
	v_mad_u64_u32 v[0:1], s[0:1], s14, v158, 0
	v_mad_u64_u32 v[2:3], s[0:1], s12, v160, 0
	s_mul_i32 s6, s13, 0x51
	s_mul_hi_u32 s7, s12, 0x51
	v_mad_u64_u32 v[4:5], s[0:1], s15, v158, v[1:2]
	s_load_dwordx2 s[14:15], s[4:5], 0x0
	s_add_i32 s7, s7, s6
	v_mad_u64_u32 v[5:6], s[0:1], s13, v160, v[3:4]
	v_mov_b32_e32 v1, v4
	v_lshlrev_b64 v[0:1], 4, v[0:1]
	v_mov_b32_e32 v6, s11
	v_mov_b32_e32 v3, v5
	v_add_co_u32_e32 v4, vcc, s10, v0
	v_addc_co_u32_e32 v5, vcc, v6, v1, vcc
	v_lshlrev_b64 v[0:1], 4, v[2:3]
	s_waitcnt lgkmcnt(0)
	v_mov_b32_e32 v2, s15
	v_add_co_u32_e32 v0, vcc, v4, v0
	v_add_co_u32_e64 v156, s[0:1], s14, v159
	s_mul_i32 s6, s12, 0x51
	v_addc_co_u32_e32 v1, vcc, v5, v1, vcc
	v_addc_co_u32_e64 v157, vcc, 0, v2, s[0:1]
	s_lshl_b64 s[16:17], s[6:7], 4
	v_mov_b32_e32 v14, s17
	v_add_co_u32_e32 v2, vcc, s16, v0
	v_addc_co_u32_e32 v3, vcc, v1, v14, vcc
	global_load_dwordx4 v[32:35], v[0:1], off
	global_load_dwordx4 v[36:39], v[2:3], off
	global_load_dwordx4 v[24:27], v159, s[14:15]
	global_load_dwordx4 v[16:19], v159, s[14:15] offset:1296
	v_add_co_u32_e32 v0, vcc, s16, v2
	v_addc_co_u32_e32 v1, vcc, v3, v14, vcc
	v_add_co_u32_e32 v2, vcc, s16, v0
	v_addc_co_u32_e32 v3, vcc, v1, v14, vcc
	global_load_dwordx4 v[40:43], v[0:1], off
	global_load_dwordx4 v[44:47], v[2:3], off
	global_load_dwordx4 v[20:23], v159, s[14:15] offset:2592
	global_load_dwordx4 v[4:7], v159, s[14:15] offset:3888
	v_add_co_u32_e32 v0, vcc, s16, v2
	v_addc_co_u32_e32 v1, vcc, v3, v14, vcc
	s_movk_i32 s6, 0x1000
	v_add_co_u32_e32 v28, vcc, s6, v156
	v_addc_co_u32_e32 v29, vcc, 0, v157, vcc
	v_add_co_u32_e32 v12, vcc, s16, v0
	global_load_dwordx4 v[48:51], v[0:1], off
	v_addc_co_u32_e32 v13, vcc, v1, v14, vcc
	global_load_dwordx4 v[52:55], v[12:13], off
	global_load_dwordx4 v[8:11], v[28:29], off offset:1088
	global_load_dwordx4 v[0:3], v[28:29], off offset:2384
	v_add_co_u32_e32 v30, vcc, s16, v12
	v_addc_co_u32_e32 v31, vcc, v13, v14, vcc
	global_load_dwordx4 v[12:15], v[28:29], off offset:3680
	global_load_dwordx4 v[56:59], v[30:31], off
	s_load_dwordx2 s[6:7], s[4:5], 0x38
	s_load_dwordx4 s[8:11], s[2:3], 0x0
	v_cmp_gt_u16_e32 vcc, 18, v160
	s_waitcnt vmcnt(11)
	v_mul_f64 v[60:61], v[34:35], v[26:27]
	v_mul_f64 v[62:63], v[32:33], v[26:27]
	s_waitcnt vmcnt(10)
	v_mul_f64 v[64:65], v[38:39], v[18:19]
	v_mul_f64 v[66:67], v[36:37], v[18:19]
	v_fma_f64 v[32:33], v[32:33], v[24:25], v[60:61]
	s_waitcnt vmcnt(7)
	v_mul_f64 v[68:69], v[42:43], v[22:23]
	v_mul_f64 v[70:71], v[40:41], v[22:23]
	s_waitcnt vmcnt(6)
	v_mul_f64 v[72:73], v[46:47], v[6:7]
	v_mul_f64 v[74:75], v[44:45], v[6:7]
	v_fma_f64 v[34:35], v[34:35], v[24:25], -v[62:63]
	v_fma_f64 v[36:37], v[36:37], v[16:17], v[64:65]
	v_fma_f64 v[38:39], v[38:39], v[16:17], -v[66:67]
	v_fma_f64 v[40:41], v[40:41], v[20:21], v[68:69]
	;; [unrolled: 2-line block ×3, first 2 shown]
	v_fma_f64 v[46:47], v[46:47], v[4:5], -v[74:75]
	s_waitcnt vmcnt(3)
	v_mul_f64 v[76:77], v[50:51], v[10:11]
	v_mul_f64 v[78:79], v[48:49], v[10:11]
	s_waitcnt vmcnt(2)
	v_mul_f64 v[80:81], v[54:55], v[2:3]
	v_mul_f64 v[82:83], v[52:53], v[2:3]
	;; [unrolled: 3-line block ×3, first 2 shown]
	v_fma_f64 v[48:49], v[48:49], v[8:9], v[76:77]
	v_fma_f64 v[50:51], v[50:51], v[8:9], -v[78:79]
	v_fma_f64 v[52:53], v[52:53], v[0:1], v[80:81]
	v_fma_f64 v[54:55], v[54:55], v[0:1], -v[82:83]
	;; [unrolled: 2-line block ×3, first 2 shown]
	ds_write_b128 v159, v[32:35]
	ds_write_b128 v159, v[36:39] offset:1296
	ds_write_b128 v159, v[40:43] offset:2592
	;; [unrolled: 1-line block ×6, first 2 shown]
	s_and_saveexec_b64 s[18:19], vcc
	s_cbranch_execz .LBB0_3
; %bb.2:
	v_mov_b32_e32 v32, 0xffffe590
	v_mad_u64_u32 v[34:35], s[2:3], s12, v32, v[30:31]
	s_mul_i32 s2, s13, 0xffffe590
	s_sub_i32 s2, s2, s12
	v_add_u32_e32 v35, s2, v35
	v_mov_b32_e32 v80, s17
	v_add_co_u32_e64 v46, s[2:3], s16, v34
	v_addc_co_u32_e64 v47, s[2:3], v35, v80, s[2:3]
	v_add_co_u32_e64 v50, s[2:3], s16, v46
	v_addc_co_u32_e64 v51, s[2:3], v47, v80, s[2:3]
	;; [unrolled: 2-line block ×4, first 2 shown]
	v_add_co_u32_e64 v78, s[2:3], s16, v66
	global_load_dwordx4 v[30:33], v[34:35], off
	v_addc_co_u32_e64 v79, s[2:3], v67, v80, s[2:3]
	global_load_dwordx4 v[34:37], v[46:47], off
	global_load_dwordx4 v[38:41], v[156:157], off offset:1008
	global_load_dwordx4 v[42:45], v[156:157], off offset:2304
	s_nop 0
	global_load_dwordx4 v[46:49], v[50:51], off
	s_nop 0
	global_load_dwordx4 v[50:53], v[62:63], off
	global_load_dwordx4 v[54:57], v[156:157], off offset:3600
	global_load_dwordx4 v[58:61], v[28:29], off offset:800
	s_waitcnt vmcnt(1)
	v_mul_f64 v[88:89], v[48:49], v[56:57]
	global_load_dwordx4 v[62:65], v[66:67], off
	s_nop 0
	global_load_dwordx4 v[66:69], v[78:79], off
	global_load_dwordx4 v[70:73], v[28:29], off offset:2096
	global_load_dwordx4 v[74:77], v[28:29], off offset:3392
	v_add_co_u32_e64 v28, s[2:3], s16, v78
	v_addc_co_u32_e64 v29, s[2:3], v79, v80, s[2:3]
	s_movk_i32 s2, 0x2000
	v_add_co_u32_e64 v86, s[2:3], s2, v156
	v_addc_co_u32_e64 v87, s[2:3], 0, v157, s[2:3]
	global_load_dwordx4 v[78:81], v[86:87], off offset:592
	global_load_dwordx4 v[82:85], v[28:29], off
	v_mul_f64 v[28:29], v[32:33], v[40:41]
	v_mul_f64 v[40:41], v[30:31], v[40:41]
	;; [unrolled: 1-line block ×5, first 2 shown]
	s_waitcnt vmcnt(6)
	v_mul_f64 v[90:91], v[52:53], v[60:61]
	v_mul_f64 v[60:61], v[50:51], v[60:61]
	v_fma_f64 v[28:29], v[30:31], v[38:39], v[28:29]
	v_fma_f64 v[30:31], v[32:33], v[38:39], -v[40:41]
	v_fma_f64 v[32:33], v[34:35], v[42:43], v[86:87]
	v_fma_f64 v[34:35], v[36:37], v[42:43], -v[44:45]
	;; [unrolled: 2-line block ×4, first 2 shown]
	s_waitcnt vmcnt(3)
	v_mul_f64 v[92:93], v[64:65], v[72:73]
	v_mul_f64 v[72:73], v[62:63], v[72:73]
	s_waitcnt vmcnt(2)
	v_mul_f64 v[94:95], v[68:69], v[76:77]
	v_mul_f64 v[76:77], v[66:67], v[76:77]
	v_fma_f64 v[44:45], v[62:63], v[70:71], v[92:93]
	v_fma_f64 v[46:47], v[64:65], v[70:71], -v[72:73]
	v_fma_f64 v[48:49], v[66:67], v[74:75], v[94:95]
	s_waitcnt vmcnt(0)
	v_mul_f64 v[96:97], v[84:85], v[80:81]
	v_mul_f64 v[80:81], v[82:83], v[80:81]
	v_fma_f64 v[50:51], v[68:69], v[74:75], -v[76:77]
	v_fma_f64 v[52:53], v[82:83], v[78:79], v[96:97]
	v_fma_f64 v[54:55], v[84:85], v[78:79], -v[80:81]
	ds_write_b128 v159, v[28:31] offset:1008
	ds_write_b128 v159, v[32:35] offset:2304
	;; [unrolled: 1-line block ×7, first 2 shown]
.LBB0_3:
	s_or_b64 exec, exec, s[18:19]
	s_waitcnt lgkmcnt(0)
	; wave barrier
	s_waitcnt lgkmcnt(0)
	ds_read_b128 v[56:59], v159
	ds_read_b128 v[72:75], v159 offset:1296
	ds_read_b128 v[68:71], v159 offset:2592
	;; [unrolled: 1-line block ×6, first 2 shown]
	s_load_dwordx2 s[4:5], s[4:5], 0x8
                                        ; implicit-def: $vgpr28_vgpr29
                                        ; implicit-def: $vgpr32_vgpr33
                                        ; implicit-def: $vgpr36_vgpr37
                                        ; implicit-def: $vgpr40_vgpr41
                                        ; implicit-def: $vgpr44_vgpr45
                                        ; implicit-def: $vgpr48_vgpr49
                                        ; implicit-def: $vgpr52_vgpr53
	s_and_saveexec_b64 s[2:3], vcc
	s_cbranch_execz .LBB0_5
; %bb.4:
	ds_read_b128 v[28:31], v159 offset:1008
	ds_read_b128 v[32:35], v159 offset:2304
	;; [unrolled: 1-line block ×7, first 2 shown]
.LBB0_5:
	s_or_b64 exec, exec, s[2:3]
	s_waitcnt lgkmcnt(0)
	v_add_f64 v[84:85], v[72:73], v[80:81]
	v_add_f64 v[86:87], v[74:75], v[82:83]
	v_add_f64 v[72:73], v[72:73], -v[80:81]
	v_add_f64 v[74:75], v[74:75], -v[82:83]
	v_add_f64 v[80:81], v[68:69], v[76:77]
	v_add_f64 v[82:83], v[70:71], v[78:79]
	v_add_f64 v[68:69], v[68:69], -v[76:77]
	v_add_f64 v[70:71], v[70:71], -v[78:79]
	;; [unrolled: 4-line block ×4, first 2 shown]
	v_add_f64 v[84:85], v[84:85], -v[76:77]
	v_add_f64 v[86:87], v[86:87], -v[78:79]
	;; [unrolled: 1-line block ×4, first 2 shown]
	v_add_f64 v[92:93], v[60:61], v[68:69]
	v_add_f64 v[94:95], v[62:63], v[70:71]
	v_add_f64 v[96:97], v[60:61], -v[68:69]
	v_add_f64 v[98:99], v[62:63], -v[70:71]
	v_add_f64 v[64:65], v[76:77], v[64:65]
	v_add_f64 v[66:67], v[78:79], v[66:67]
	v_add_f64 v[68:69], v[68:69], -v[72:73]
	v_add_f64 v[70:71], v[70:71], -v[74:75]
	s_mov_b32 s16, 0x37e14327
	s_mov_b32 s12, 0x36b3c0b5
	;; [unrolled: 1-line block ×8, first 2 shown]
	v_add_f64 v[60:61], v[72:73], -v[60:61]
	v_add_f64 v[62:63], v[74:75], -v[62:63]
	v_add_f64 v[72:73], v[92:93], v[72:73]
	v_add_f64 v[74:75], v[94:95], v[74:75]
	;; [unrolled: 1-line block ×4, first 2 shown]
	v_mul_f64 v[76:77], v[84:85], s[16:17]
	v_mul_f64 v[78:79], v[86:87], s[16:17]
	;; [unrolled: 1-line block ×8, first 2 shown]
	s_mov_b32 s22, 0xaaaaaaaa
	s_mov_b32 s24, 0x5476071b
	s_mov_b32 s30, 0xb247c609
	s_mov_b32 s23, 0xbff2aaaa
	s_mov_b32 s25, 0x3fe77f67
	s_mov_b32 s29, 0xbfe77f67
	s_mov_b32 s28, s24
	s_mov_b32 s31, 0x3fd5d0dc
	s_mov_b32 s35, 0xbfd5d0dc
	s_mov_b32 s34, s30
	v_fma_f64 v[64:65], v[64:65], s[22:23], v[56:57]
	v_fma_f64 v[66:67], v[66:67], s[22:23], v[58:59]
	;; [unrolled: 1-line block ×4, first 2 shown]
	v_fma_f64 v[84:85], v[88:89], s[24:25], -v[84:85]
	v_fma_f64 v[86:87], v[90:91], s[24:25], -v[86:87]
	;; [unrolled: 1-line block ×4, first 2 shown]
	v_fma_f64 v[88:89], v[60:61], s[30:31], v[92:93]
	v_fma_f64 v[90:91], v[62:63], s[30:31], v[94:95]
	v_fma_f64 v[60:61], v[60:61], s[34:35], -v[96:97]
	v_fma_f64 v[62:63], v[62:63], s[34:35], -v[98:99]
	s_mov_b32 s26, 0x37c3f68c
	s_mov_b32 s27, 0x3fdc38aa
	v_fma_f64 v[68:69], v[68:69], s[18:19], -v[92:93]
	v_fma_f64 v[70:71], v[70:71], s[18:19], -v[94:95]
	v_add_f64 v[101:102], v[80:81], v[64:65]
	v_add_f64 v[103:104], v[82:83], v[66:67]
	;; [unrolled: 1-line block ×6, first 2 shown]
	v_fma_f64 v[62:63], v[74:75], s[26:27], v[62:63]
	v_fma_f64 v[60:61], v[72:73], s[26:27], v[60:61]
	;; [unrolled: 1-line block ×6, first 2 shown]
	v_add_co_u32_e64 v100, s[2:3], 63, v160
	v_add_f64 v[84:85], v[64:65], v[62:63]
	v_add_f64 v[86:87], v[66:67], -v[60:61]
	v_add_f64 v[96:97], v[64:65], -v[62:63]
	v_add_f64 v[98:99], v[60:61], v[66:67]
	v_add_f64 v[60:61], v[32:33], v[52:53]
	;; [unrolled: 1-line block ×3, first 2 shown]
	v_add_f64 v[32:33], v[32:33], -v[52:53]
	v_add_f64 v[34:35], v[34:35], -v[54:55]
	v_add_f64 v[52:53], v[36:37], v[48:49]
	v_add_f64 v[54:55], v[38:39], v[50:51]
	v_add_f64 v[36:37], v[36:37], -v[48:49]
	v_add_f64 v[38:39], v[38:39], -v[50:51]
	v_add_f64 v[48:49], v[40:41], v[44:45]
	v_add_f64 v[50:51], v[42:43], v[46:47]
	;; [unrolled: 4-line block ×3, first 2 shown]
	v_add_f64 v[88:89], v[92:93], -v[70:71]
	v_add_f64 v[90:91], v[68:69], v[94:95]
	v_add_f64 v[92:93], v[92:93], v[70:71]
	v_add_f64 v[94:95], v[94:95], -v[68:69]
	v_add_f64 v[64:65], v[52:53], -v[60:61]
	;; [unrolled: 1-line block ×7, first 2 shown]
	v_add_f64 v[68:69], v[40:41], v[36:37]
	v_add_f64 v[70:71], v[42:43], v[38:39]
	v_add_f64 v[72:73], v[40:41], -v[36:37]
	v_add_f64 v[74:75], v[42:43], -v[38:39]
	v_add_f64 v[44:45], v[48:49], v[44:45]
	v_add_f64 v[46:47], v[50:51], v[46:47]
	v_add_f64 v[36:37], v[36:37], -v[32:33]
	v_add_f64 v[38:39], v[38:39], -v[34:35]
	;; [unrolled: 1-line block ×4, first 2 shown]
	v_add_f64 v[48:49], v[68:69], v[32:33]
	v_add_f64 v[34:35], v[70:71], v[34:35]
	;; [unrolled: 1-line block ×4, first 2 shown]
	v_mul_f64 v[32:33], v[60:61], s[16:17]
	v_mul_f64 v[50:51], v[62:63], s[16:17]
	;; [unrolled: 1-line block ×8, first 2 shown]
	v_fma_f64 v[44:45], v[44:45], s[22:23], v[28:29]
	v_fma_f64 v[46:47], v[46:47], s[22:23], v[30:31]
	;; [unrolled: 1-line block ×4, first 2 shown]
	v_fma_f64 v[60:61], v[64:65], s[24:25], -v[60:61]
	v_fma_f64 v[62:63], v[66:67], s[24:25], -v[62:63]
	;; [unrolled: 1-line block ×4, first 2 shown]
	v_fma_f64 v[64:65], v[40:41], s[30:31], v[68:69]
	v_fma_f64 v[66:67], v[42:43], s[30:31], v[70:71]
	v_fma_f64 v[42:43], v[42:43], s[34:35], -v[74:75]
	v_fma_f64 v[40:41], v[40:41], s[34:35], -v[72:73]
	;; [unrolled: 1-line block ×4, first 2 shown]
	v_add_f64 v[80:81], v[101:102], v[76:77]
	v_add_f64 v[101:102], v[101:102], -v[76:77]
	v_add_f64 v[68:69], v[60:61], v[44:45]
	v_add_f64 v[70:71], v[62:63], v[46:47]
	;; [unrolled: 1-line block ×4, first 2 shown]
	v_fma_f64 v[42:43], v[34:35], s[26:27], v[42:43]
	v_fma_f64 v[40:41], v[48:49], s[26:27], v[40:41]
	v_fma_f64 v[74:75], v[34:35], s[26:27], v[38:39]
	v_fma_f64 v[76:77], v[48:49], s[26:27], v[36:37]
	v_add_f64 v[32:33], v[52:53], v[44:45]
	v_add_f64 v[36:37], v[54:55], v[46:47]
	v_fma_f64 v[38:39], v[48:49], s[26:27], v[64:65]
	v_fma_f64 v[34:35], v[34:35], s[26:27], v[66:67]
	v_add_f64 v[82:83], v[103:104], -v[78:79]
	v_add_f64 v[103:104], v[78:79], v[103:104]
	v_add_f64 v[60:61], v[72:73], v[42:43]
	v_add_f64 v[62:63], v[50:51], -v[40:41]
	v_add_f64 v[64:65], v[68:69], -v[74:75]
	v_add_f64 v[66:67], v[76:77], v[70:71]
	v_add_f64 v[68:69], v[68:69], v[74:75]
	v_add_f64 v[70:71], v[70:71], -v[76:77]
	v_add_f64 v[72:73], v[72:73], -v[42:43]
	v_add_f64 v[74:75], v[40:41], v[50:51]
	v_add_f64 v[76:77], v[32:33], -v[34:35]
	v_add_f64 v[78:79], v[38:39], v[36:37]
	v_mul_lo_u16_e32 v40, 7, v160
	v_lshlrev_b32_e32 v162, 4, v40
	v_mul_u32_u24_e32 v161, 7, v100
	s_waitcnt lgkmcnt(0)
	; wave barrier
	ds_write_b128 v162, v[56:59]
	ds_write_b128 v162, v[80:83] offset:16
	ds_write_b128 v162, v[84:87] offset:32
	;; [unrolled: 1-line block ×6, first 2 shown]
	s_and_saveexec_b64 s[2:3], vcc
	s_cbranch_execz .LBB0_7
; %bb.6:
	v_add_f64 v[36:37], v[36:37], -v[38:39]
	v_add_f64 v[34:35], v[32:33], v[34:35]
	v_lshlrev_b32_e32 v32, 4, v161
	ds_write_b128 v32, v[28:31]
	ds_write_b128 v32, v[60:63] offset:32
	ds_write_b128 v32, v[64:67] offset:48
	;; [unrolled: 1-line block ×6, first 2 shown]
.LBB0_7:
	s_or_b64 exec, exec, s[2:3]
	v_mov_b32_e32 v28, 37
	v_mul_lo_u16_sdwa v28, v160, v28 dst_sel:DWORD dst_unused:UNUSED_PAD src0_sel:BYTE_0 src1_sel:DWORD
	v_sub_u16_sdwa v29, v160, v28 dst_sel:DWORD dst_unused:UNUSED_PAD src0_sel:DWORD src1_sel:BYTE_1
	v_lshrrev_b16_e32 v29, 1, v29
	v_and_b32_e32 v29, 0x7f, v29
	v_add_u16_sdwa v28, v29, v28 dst_sel:DWORD dst_unused:UNUSED_PAD src0_sel:DWORD src1_sel:BYTE_1
	v_lshrrev_b16_e32 v173, 2, v28
	v_mul_lo_u16_e32 v28, 7, v173
	v_sub_u16_e32 v28, v160, v28
	v_and_b32_e32 v174, 0xff, v28
	v_lshlrev_b32_e32 v80, 7, v174
	s_waitcnt lgkmcnt(0)
	; wave barrier
	s_waitcnt lgkmcnt(0)
	global_load_dwordx4 v[40:43], v80, s[4:5]
	global_load_dwordx4 v[36:39], v80, s[4:5] offset:16
	global_load_dwordx4 v[32:35], v80, s[4:5] offset:32
	;; [unrolled: 1-line block ×7, first 2 shown]
	ds_read_b128 v[80:83], v159
	ds_read_b128 v[84:87], v159 offset:1008
	ds_read_b128 v[88:91], v159 offset:2016
	ds_read_b128 v[92:95], v159 offset:3024
	ds_read_b128 v[96:99], v159 offset:4032
	ds_read_b128 v[102:105], v159 offset:5040
	ds_read_b128 v[106:109], v159 offset:6048
	ds_read_b128 v[110:113], v159 offset:7056
	ds_read_b128 v[114:117], v159 offset:8064
	s_mov_b32 s28, 0xa2cf5039
	s_mov_b32 s21, 0x3fe491b7
	;; [unrolled: 1-line block ×16, first 2 shown]
	s_movk_i32 s2, 0x7e
	v_add_co_u32_e64 v101, s[2:3], s2, v160
	s_waitcnt lgkmcnt(0)
	; wave barrier
	s_waitcnt lgkmcnt(0)
	v_lshlrev_b32_e32 v100, 5, v100
	s_waitcnt vmcnt(7)
	v_mul_f64 v[118:119], v[86:87], v[42:43]
	v_mul_f64 v[120:121], v[84:85], v[42:43]
	s_waitcnt vmcnt(6)
	v_mul_f64 v[122:123], v[90:91], v[38:39]
	v_mul_f64 v[124:125], v[88:89], v[38:39]
	;; [unrolled: 3-line block ×3, first 2 shown]
	s_waitcnt vmcnt(4)
	v_mul_f64 v[130:131], v[98:99], v[30:31]
	s_waitcnt vmcnt(0)
	v_mul_f64 v[146:147], v[116:117], v[58:59]
	v_mul_f64 v[148:149], v[114:115], v[58:59]
	;; [unrolled: 1-line block ×9, first 2 shown]
	v_fma_f64 v[84:85], v[84:85], v[40:41], -v[118:119]
	v_fma_f64 v[86:87], v[86:87], v[40:41], v[120:121]
	v_fma_f64 v[114:115], v[114:115], v[56:57], -v[146:147]
	v_fma_f64 v[116:117], v[116:117], v[56:57], v[148:149]
	;; [unrolled: 2-line block ×8, first 2 shown]
	v_add_f64 v[118:119], v[84:85], v[114:115]
	v_add_f64 v[120:121], v[86:87], v[116:117]
	v_add_f64 v[114:115], v[84:85], -v[114:115]
	v_add_f64 v[116:117], v[86:87], -v[116:117]
	v_add_f64 v[122:123], v[88:89], v[110:111]
	v_add_f64 v[124:125], v[90:91], v[112:113]
	;; [unrolled: 1-line block ×4, first 2 shown]
	v_add_f64 v[84:85], v[88:89], -v[110:111]
	v_add_f64 v[86:87], v[90:91], -v[112:113]
	;; [unrolled: 1-line block ×5, first 2 shown]
	v_add_f64 v[94:95], v[98:99], v[104:105]
	v_mul_f64 v[110:111], v[114:115], s[20:21]
	v_mul_f64 v[112:113], v[116:117], s[20:21]
	v_fma_f64 v[130:131], v[118:119], s[28:29], v[80:81]
	v_add_f64 v[92:93], v[96:97], v[102:103]
	v_add_f64 v[108:109], v[98:99], -v[104:105]
	v_fma_f64 v[132:133], v[120:121], s[28:29], v[82:83]
	s_mov_b32 s21, 0xbfe491b7
	v_fma_f64 v[136:137], v[94:95], s[28:29], v[82:83]
	v_mul_f64 v[165:166], v[90:91], s[20:21]
	v_fma_f64 v[110:111], v[84:85], s[22:23], v[110:111]
	v_fma_f64 v[112:113], v[86:87], s[22:23], v[112:113]
	;; [unrolled: 1-line block ×4, first 2 shown]
	v_mul_f64 v[167:168], v[108:109], s[20:21]
	v_fma_f64 v[132:133], v[124:125], s[26:27], v[132:133]
	v_fma_f64 v[136:137], v[120:121], s[26:27], v[136:137]
	;; [unrolled: 1-line block ×5, first 2 shown]
	v_fma_f64 v[130:131], v[126:127], -0.5, v[130:131]
	v_fma_f64 v[134:135], v[118:119], s[26:27], v[134:135]
	v_fma_f64 v[167:168], v[116:117], s[22:23], v[167:168]
	v_fma_f64 v[132:133], v[128:129], -0.5, v[132:133]
	v_add_f64 v[138:139], v[90:91], v[114:115]
	v_add_f64 v[140:141], v[108:109], v[116:117]
	v_mul_f64 v[150:151], v[90:91], s[22:23]
	v_mul_f64 v[152:153], v[108:109], s[22:23]
	v_fma_f64 v[136:137], v[128:129], -0.5, v[136:137]
	v_fma_f64 v[165:166], v[88:89], s[16:17], v[165:166]
	v_fma_f64 v[110:111], v[90:91], s[18:19], v[110:111]
	;; [unrolled: 1-line block ×4, first 2 shown]
	v_add_f64 v[146:147], v[122:123], v[118:119]
	v_fma_f64 v[154:155], v[122:123], s[28:29], v[80:81]
	v_fma_f64 v[163:164], v[124:125], s[28:29], v[82:83]
	v_fma_f64 v[134:135], v[126:127], -0.5, v[134:135]
	v_fma_f64 v[167:168], v[106:107], s[16:17], v[167:168]
	v_fma_f64 v[112:113], v[94:95], s[24:25], v[132:133]
	v_add_f64 v[148:149], v[124:125], v[120:121]
	v_add_f64 v[138:139], v[138:139], -v[84:85]
	v_fma_f64 v[130:131], v[84:85], s[20:21], -v[150:151]
	v_fma_f64 v[124:125], v[124:125], s[24:25], v[136:137]
	v_fma_f64 v[136:137], v[84:85], s[18:19], v[165:166]
	v_add_f64 v[84:85], v[108:109], v[90:91]
	v_add_f64 v[140:141], v[140:141], -v[86:87]
	v_add_f64 v[169:170], v[92:93], v[146:147]
	v_fma_f64 v[132:133], v[86:87], s[20:21], -v[152:153]
	v_fma_f64 v[122:123], v[122:123], s[24:25], v[134:135]
	v_fma_f64 v[134:135], v[86:87], s[18:19], v[167:168]
	v_add_f64 v[86:87], v[112:113], -v[110:111]
	v_add_f64 v[112:113], v[126:127], v[146:147]
	v_fma_f64 v[146:147], v[92:93], s[26:27], v[154:155]
	v_fma_f64 v[150:151], v[94:95], s[26:27], v[163:164]
	v_fma_f64 v[92:93], v[108:109], -2.0, v[84:85]
	v_add_f64 v[108:109], v[128:129], v[148:149]
	v_add_f64 v[144:145], v[82:83], v[128:129]
	;; [unrolled: 1-line block ×3, first 2 shown]
	v_fma_f64 v[130:131], v[88:89], s[12:13], v[130:131]
	v_add_f64 v[88:89], v[134:135], v[122:123]
	v_fma_f64 v[94:95], v[110:111], 2.0, v[86:87]
	v_fma_f64 v[106:107], v[106:107], s[12:13], v[132:133]
	v_fma_f64 v[110:111], v[126:127], -0.5, v[146:147]
	v_fma_f64 v[122:123], v[128:129], -0.5, v[150:151]
	v_add_f64 v[142:143], v[80:81], v[126:127]
	v_add_f64 v[112:113], v[96:97], v[112:113]
	;; [unrolled: 1-line block ×3, first 2 shown]
	v_fma_f64 v[126:127], v[171:172], -0.5, v[144:145]
	v_fma_f64 v[128:129], v[114:115], s[18:19], v[130:131]
	v_fma_f64 v[114:115], v[116:117], s[18:19], v[106:107]
	;; [unrolled: 1-line block ×4, first 2 shown]
	v_add_f64 v[90:91], v[124:125], -v[136:137]
	v_fma_f64 v[124:125], v[169:170], -0.5, v[142:143]
	v_add_f64 v[112:113], v[102:103], v[112:113]
	v_add_f64 v[118:119], v[104:105], v[98:99]
	v_mul_f64 v[116:117], v[138:139], s[12:13]
	v_fma_f64 v[98:99], v[138:139], s[16:17], v[126:127]
	v_add_f64 v[102:103], v[114:115], v[106:107]
	v_add_f64 v[104:105], v[108:109], -v[128:129]
	v_mul_f64 v[110:111], v[140:141], s[12:13]
	v_fma_f64 v[96:97], v[140:141], s[12:13], v[124:125]
	v_add_f64 v[80:81], v[80:81], v[112:113]
	v_add_f64 v[82:83], v[82:83], v[118:119]
	v_mul_u32_u24_e32 v118, 63, v173
	v_fma_f64 v[112:113], v[116:117], 2.0, v[98:99]
	v_fma_f64 v[114:115], v[114:115], -2.0, v[102:103]
	v_fma_f64 v[116:117], v[128:129], 2.0, v[104:105]
	v_fma_f64 v[106:107], v[134:135], -2.0, v[88:89]
	v_fma_f64 v[110:111], v[110:111], -2.0, v[96:97]
	v_fma_f64 v[108:109], v[136:137], 2.0, v[90:91]
	v_add_lshl_u32 v163, v118, v174, 4
	ds_write_b128 v163, v[80:83]
	ds_write_b128 v163, v[84:87] offset:112
	ds_write_b128 v163, v[88:91] offset:224
	;; [unrolled: 1-line block ×8, first 2 shown]
	v_mov_b32_e32 v88, 5
	v_lshlrev_b32_e32 v166, 5, v160
	v_mul_lo_u16_sdwa v89, v101, v88 dst_sel:DWORD dst_unused:UNUSED_PAD src0_sel:BYTE_0 src1_sel:DWORD
	s_waitcnt lgkmcnt(0)
	; wave barrier
	s_waitcnt lgkmcnt(0)
	global_load_dwordx4 v[80:83], v166, s[4:5] offset:912
	global_load_dwordx4 v[84:87], v166, s[4:5] offset:896
	v_sub_u16_sdwa v90, v101, v89 dst_sel:DWORD dst_unused:UNUSED_PAD src0_sel:DWORD src1_sel:BYTE_1
	v_lshrrev_b16_e32 v90, 1, v90
	v_and_b32_e32 v90, 0x7f, v90
	v_add_u16_sdwa v89, v90, v89 dst_sel:DWORD dst_unused:UNUSED_PAD src0_sel:DWORD src1_sel:BYTE_1
	v_lshrrev_b16_e32 v89, 5, v89
	v_mul_lo_u16_e32 v89, 63, v89
	v_sub_u16_e32 v167, v101, v89
	v_lshlrev_b32_sdwa v96, v88, v167 dst_sel:DWORD dst_unused:UNUSED_PAD src0_sel:DWORD src1_sel:BYTE_0
	global_load_dwordx4 v[92:95], v96, s[4:5] offset:896
	global_load_dwordx4 v[88:91], v96, s[4:5] offset:912
	ds_read_b128 v[96:99], v159
	ds_read_b128 v[102:105], v159 offset:1008
	ds_read_b128 v[106:109], v159 offset:6048
	;; [unrolled: 1-line block ×8, first 2 shown]
	s_mov_b32 s12, 0xe8584caa
	s_mov_b32 s16, s12
	s_waitcnt lgkmcnt(0)
	; wave barrier
	s_waitcnt vmcnt(3) lgkmcnt(0)
	v_mul_f64 v[138:139], v[108:109], v[82:83]
	s_waitcnt vmcnt(2)
	v_mul_f64 v[134:135], v[116:117], v[86:87]
	v_mul_f64 v[136:137], v[114:115], v[86:87]
	v_mul_f64 v[140:141], v[106:107], v[82:83]
	v_mul_f64 v[142:143], v[124:125], v[86:87]
	v_mul_f64 v[146:147], v[112:113], v[82:83]
	v_mul_f64 v[144:145], v[122:123], v[86:87]
	v_mul_f64 v[148:149], v[110:111], v[82:83]
	v_fma_f64 v[106:107], v[106:107], v[80:81], -v[138:139]
	s_waitcnt vmcnt(1)
	v_mul_f64 v[150:151], v[128:129], v[94:95]
	v_mul_f64 v[152:153], v[126:127], v[94:95]
	s_waitcnt vmcnt(0)
	v_mul_f64 v[154:155], v[132:133], v[90:91]
	v_mul_f64 v[164:165], v[130:131], v[90:91]
	v_fma_f64 v[114:115], v[114:115], v[84:85], -v[134:135]
	v_fma_f64 v[116:117], v[116:117], v[84:85], v[136:137]
	v_fma_f64 v[108:109], v[108:109], v[80:81], v[140:141]
	v_fma_f64 v[122:123], v[122:123], v[84:85], -v[142:143]
	v_fma_f64 v[110:111], v[110:111], v[80:81], -v[146:147]
	;; [unrolled: 1-line block ×3, first 2 shown]
	v_fma_f64 v[128:129], v[128:129], v[92:93], v[152:153]
	v_fma_f64 v[130:131], v[130:131], v[88:89], -v[154:155]
	v_fma_f64 v[132:133], v[132:133], v[88:89], v[164:165]
	v_add_f64 v[136:137], v[114:115], v[106:107]
	v_fma_f64 v[124:125], v[124:125], v[84:85], v[144:145]
	v_fma_f64 v[134:135], v[112:113], v[80:81], v[148:149]
	v_add_f64 v[138:139], v[116:117], -v[108:109]
	v_add_f64 v[140:141], v[98:99], v[116:117]
	v_add_f64 v[116:117], v[116:117], v[108:109]
	v_add_f64 v[112:113], v[96:97], v[114:115]
	v_add_f64 v[142:143], v[102:103], v[122:123]
	v_add_f64 v[144:145], v[122:123], v[110:111]
	v_add_f64 v[150:151], v[122:123], -v[110:111]
	v_add_f64 v[154:155], v[126:127], v[130:131]
	v_fma_f64 v[122:123], v[136:137], -0.5, v[96:97]
	v_add_f64 v[136:137], v[128:129], v[132:133]
	v_add_f64 v[146:147], v[124:125], -v[134:135]
	v_add_f64 v[148:149], v[104:105], v[124:125]
	v_add_f64 v[124:125], v[124:125], v[134:135]
	v_add_f64 v[114:115], v[114:115], -v[106:107]
	v_fma_f64 v[116:117], v[116:117], -0.5, v[98:99]
	v_add_f64 v[152:153], v[118:119], v[126:127]
	v_add_f64 v[98:99], v[140:141], v[108:109]
	v_add_f64 v[140:141], v[128:129], -v[132:133]
	v_add_f64 v[128:129], v[120:121], v[128:129]
	v_add_f64 v[96:97], v[112:113], v[106:107]
	v_fma_f64 v[144:145], v[144:145], -0.5, v[102:103]
	v_add_f64 v[102:103], v[142:143], v[110:111]
	v_fma_f64 v[106:107], v[138:139], s[12:13], v[122:123]
	v_fma_f64 v[110:111], v[138:139], s[16:17], v[122:123]
	v_fma_f64 v[138:139], v[154:155], -0.5, v[118:119]
	v_fma_f64 v[136:137], v[136:137], -0.5, v[120:121]
	v_add_f64 v[142:143], v[126:127], -v[130:131]
	v_fma_f64 v[124:125], v[124:125], -0.5, v[104:105]
	v_fma_f64 v[108:109], v[114:115], s[16:17], v[116:117]
	v_fma_f64 v[112:113], v[114:115], s[12:13], v[116:117]
	v_add_f64 v[118:119], v[152:153], v[130:131]
	v_add_f64 v[120:121], v[128:129], v[132:133]
	;; [unrolled: 1-line block ×3, first 2 shown]
	v_fma_f64 v[126:127], v[140:141], s[12:13], v[138:139]
	v_fma_f64 v[128:129], v[142:143], s[16:17], v[136:137]
	;; [unrolled: 1-line block ×8, first 2 shown]
	ds_write_b128 v159, v[96:99]
	ds_write_b128 v159, v[106:109] offset:1008
	ds_write_b128 v159, v[110:113] offset:2016
	;; [unrolled: 1-line block ×5, first 2 shown]
	v_mov_b32_e32 v96, 4
	v_lshlrev_b32_sdwa v164, v96, v167 dst_sel:DWORD dst_unused:UNUSED_PAD src0_sel:DWORD src1_sel:BYTE_0
	ds_write_b128 v164, v[118:121] offset:6048
	ds_write_b128 v164, v[126:129] offset:7056
	;; [unrolled: 1-line block ×3, first 2 shown]
	s_waitcnt lgkmcnt(0)
	; wave barrier
	s_waitcnt lgkmcnt(0)
	global_load_dwordx4 v[104:107], v166, s[4:5] offset:2912
	global_load_dwordx4 v[96:99], v166, s[4:5] offset:2928
	global_load_dwordx4 v[112:115], v100, s[4:5] offset:2912
	global_load_dwordx4 v[108:111], v100, s[4:5] offset:2928
	v_lshlrev_b32_e32 v100, 5, v101
	global_load_dwordx4 v[116:119], v100, s[4:5] offset:2912
	s_nop 0
	global_load_dwordx4 v[100:103], v100, s[4:5] offset:2928
	v_mov_b32_e32 v120, s15
	v_addc_co_u32_e64 v197, s[0:1], 0, v120, s[0:1]
	ds_read_b128 v[120:123], v159 offset:3024
	ds_read_b128 v[124:127], v159 offset:6048
	;; [unrolled: 1-line block ×6, first 2 shown]
	ds_read_b128 v[144:147], v159
	ds_read_b128 v[148:151], v159 offset:1008
	ds_read_b128 v[152:155], v159 offset:2016
	s_movk_i32 s4, 0x2000
	s_waitcnt vmcnt(5) lgkmcnt(8)
	v_mul_f64 v[165:166], v[122:123], v[106:107]
	v_mul_f64 v[167:168], v[120:121], v[106:107]
	s_waitcnt vmcnt(4) lgkmcnt(7)
	v_mul_f64 v[169:170], v[126:127], v[98:99]
	v_mul_f64 v[171:172], v[124:125], v[98:99]
	;; [unrolled: 3-line block ×3, first 2 shown]
	s_waitcnt vmcnt(2)
	v_mul_f64 v[177:178], v[130:131], v[110:111]
	v_mul_f64 v[179:180], v[128:129], v[110:111]
	s_waitcnt vmcnt(1) lgkmcnt(4)
	v_mul_f64 v[181:182], v[138:139], v[118:119]
	v_mul_f64 v[183:184], v[136:137], v[118:119]
	s_waitcnt vmcnt(0) lgkmcnt(3)
	v_mul_f64 v[185:186], v[142:143], v[102:103]
	v_mul_f64 v[187:188], v[140:141], v[102:103]
	v_fma_f64 v[120:121], v[120:121], v[104:105], -v[165:166]
	v_fma_f64 v[122:123], v[122:123], v[104:105], v[167:168]
	v_fma_f64 v[124:125], v[124:125], v[96:97], -v[169:170]
	v_fma_f64 v[126:127], v[126:127], v[96:97], v[171:172]
	;; [unrolled: 2-line block ×6, first 2 shown]
	v_add_f64 v[140:141], v[120:121], v[124:125]
	v_add_f64 v[142:143], v[122:123], v[126:127]
	;; [unrolled: 1-line block ×4, first 2 shown]
	s_waitcnt lgkmcnt(2)
	v_add_f64 v[169:170], v[144:145], v[120:121]
	v_add_f64 v[171:172], v[146:147], v[122:123]
	;; [unrolled: 1-line block ×4, first 2 shown]
	s_waitcnt lgkmcnt(1)
	v_add_f64 v[177:178], v[148:149], v[132:133]
	v_add_f64 v[179:180], v[150:151], v[134:135]
	s_waitcnt lgkmcnt(0)
	v_add_f64 v[189:190], v[154:155], v[130:131]
	v_add_f64 v[191:192], v[152:153], v[128:129]
	v_add_f64 v[122:123], v[122:123], -v[126:127]
	v_add_f64 v[120:121], v[120:121], -v[124:125]
	v_fma_f64 v[144:145], v[140:141], -0.5, v[144:145]
	v_fma_f64 v[146:147], v[142:143], -0.5, v[146:147]
	v_add_f64 v[181:182], v[134:135], -v[167:168]
	v_add_f64 v[183:184], v[132:133], -v[165:166]
	v_fma_f64 v[173:174], v[173:174], -0.5, v[148:149]
	v_fma_f64 v[175:176], v[175:176], -0.5, v[150:151]
	v_add_f64 v[193:194], v[130:131], -v[138:139]
	v_add_f64 v[195:196], v[128:129], -v[136:137]
	v_add_f64 v[130:131], v[171:172], v[126:127]
	v_add_f64 v[128:129], v[169:170], v[124:125]
	v_fma_f64 v[124:125], v[185:186], -0.5, v[152:153]
	v_fma_f64 v[126:127], v[187:188], -0.5, v[154:155]
	v_add_f64 v[132:133], v[177:178], v[165:166]
	v_add_f64 v[134:135], v[179:180], v[167:168]
	;; [unrolled: 1-line block ×4, first 2 shown]
	v_fma_f64 v[140:141], v[122:123], s[12:13], v[144:145]
	v_fma_f64 v[142:143], v[120:121], s[16:17], v[146:147]
	;; [unrolled: 1-line block ×12, first 2 shown]
	ds_write_b128 v159, v[128:131]
	ds_write_b128 v159, v[132:135] offset:1008
	ds_write_b128 v159, v[136:139] offset:2016
	;; [unrolled: 1-line block ×8, first 2 shown]
	v_add_co_u32_e64 v138, s[0:1], s4, v156
	v_addc_co_u32_e64 v139, s[0:1], 0, v197, s[0:1]
	s_movk_i32 s0, 0x2370
	v_add_co_u32_e64 v128, s[0:1], s0, v156
	v_addc_co_u32_e64 v129, s[0:1], 0, v197, s[0:1]
	s_movk_i32 s0, 0x3000
	s_waitcnt lgkmcnt(0)
	; wave barrier
	s_waitcnt lgkmcnt(0)
	global_load_dwordx4 v[130:133], v[128:129], off offset:1296
	global_load_dwordx4 v[134:137], v[128:129], off offset:2592
	s_nop 0
	global_load_dwordx4 v[138:141], v[138:139], off offset:880
	s_nop 0
	global_load_dwordx4 v[142:145], v[128:129], off offset:3888
	v_add_co_u32_e64 v150, s[0:1], s0, v156
	v_addc_co_u32_e64 v151, s[0:1], 0, v197, s[0:1]
	s_movk_i32 s0, 0x4000
	v_add_co_u32_e64 v154, s[0:1], s0, v156
	global_load_dwordx4 v[146:149], v[150:151], off offset:1968
	s_nop 0
	global_load_dwordx4 v[150:153], v[150:151], off offset:3264
	v_addc_co_u32_e64 v155, s[0:1], 0, v197, s[0:1]
	global_load_dwordx4 v[165:168], v[154:155], off offset:464
	ds_read_b128 v[169:172], v159
	ds_read_b128 v[173:176], v159 offset:1296
	ds_read_b128 v[177:180], v159 offset:2592
	;; [unrolled: 1-line block ×6, first 2 shown]
	s_waitcnt vmcnt(6) lgkmcnt(5)
	v_mul_f64 v[197:198], v[175:176], v[132:133]
	v_mul_f64 v[132:133], v[173:174], v[132:133]
	s_waitcnt vmcnt(4)
	v_mul_f64 v[154:155], v[171:172], v[140:141]
	v_mul_f64 v[140:141], v[169:170], v[140:141]
	s_waitcnt lgkmcnt(4)
	v_mul_f64 v[199:200], v[179:180], v[136:137]
	v_mul_f64 v[201:202], v[177:178], v[136:137]
	s_waitcnt vmcnt(3) lgkmcnt(3)
	v_mul_f64 v[203:204], v[183:184], v[144:145]
	v_mul_f64 v[144:145], v[181:182], v[144:145]
	s_waitcnt vmcnt(2) lgkmcnt(2)
	;; [unrolled: 3-line block ×4, first 2 shown]
	v_mul_f64 v[211:212], v[195:196], v[167:168]
	v_mul_f64 v[213:214], v[193:194], v[167:168]
	v_fma_f64 v[136:137], v[169:170], v[138:139], -v[154:155]
	v_fma_f64 v[138:139], v[171:172], v[138:139], v[140:141]
	v_fma_f64 v[152:153], v[173:174], v[130:131], -v[197:198]
	v_fma_f64 v[154:155], v[175:176], v[130:131], v[132:133]
	;; [unrolled: 2-line block ×7, first 2 shown]
	ds_write_b128 v159, v[136:139]
	ds_write_b128 v159, v[152:155] offset:1296
	ds_write_b128 v159, v[130:133] offset:2592
	;; [unrolled: 1-line block ×6, first 2 shown]
	s_and_saveexec_b64 s[2:3], vcc
	s_cbranch_execz .LBB0_9
; %bb.8:
	v_add_co_u32_e64 v142, s[0:1], s4, v128
	global_load_dwordx4 v[130:133], v[128:129], off offset:1008
	global_load_dwordx4 v[134:137], v[128:129], off offset:2304
	;; [unrolled: 1-line block ×3, first 2 shown]
	s_movk_i32 s5, 0x1000
	v_addc_co_u32_e64 v143, s[0:1], 0, v129, s[0:1]
	global_load_dwordx4 v[142:145], v[142:143], off offset:592
	v_add_co_u32_e64 v128, s[0:1], s5, v128
	v_addc_co_u32_e64 v129, s[0:1], 0, v129, s[0:1]
	global_load_dwordx4 v[146:149], v[128:129], off offset:800
	global_load_dwordx4 v[150:153], v[128:129], off offset:2096
	;; [unrolled: 1-line block ×3, first 2 shown]
	ds_read_b128 v[169:172], v159 offset:1008
	ds_read_b128 v[173:176], v159 offset:2304
	;; [unrolled: 1-line block ×7, first 2 shown]
	s_waitcnt vmcnt(6) lgkmcnt(6)
	v_mul_f64 v[128:129], v[171:172], v[132:133]
	v_mul_f64 v[132:133], v[169:170], v[132:133]
	s_waitcnt vmcnt(5) lgkmcnt(5)
	v_mul_f64 v[154:155], v[175:176], v[136:137]
	v_mul_f64 v[136:137], v[173:174], v[136:137]
	;; [unrolled: 3-line block ×4, first 2 shown]
	v_fma_f64 v[128:129], v[169:170], v[130:131], -v[128:129]
	s_waitcnt vmcnt(2)
	v_mul_f64 v[144:145], v[183:184], v[148:149]
	v_mul_f64 v[148:149], v[181:182], v[148:149]
	s_waitcnt vmcnt(1)
	v_mul_f64 v[203:204], v[187:188], v[152:153]
	v_mul_f64 v[152:153], v[185:186], v[152:153]
	;; [unrolled: 3-line block ×3, first 2 shown]
	v_fma_f64 v[130:131], v[171:172], v[130:131], v[132:133]
	v_fma_f64 v[132:133], v[173:174], v[134:135], -v[154:155]
	v_fma_f64 v[134:135], v[175:176], v[134:135], v[136:137]
	v_fma_f64 v[136:137], v[177:178], v[138:139], -v[197:198]
	;; [unrolled: 2-line block ×6, first 2 shown]
	v_fma_f64 v[142:143], v[195:196], v[142:143], v[201:202]
	ds_write_b128 v159, v[128:131] offset:1008
	ds_write_b128 v159, v[132:135] offset:2304
	;; [unrolled: 1-line block ×7, first 2 shown]
.LBB0_9:
	s_or_b64 exec, exec, s[2:3]
	s_waitcnt lgkmcnt(0)
	; wave barrier
	s_waitcnt lgkmcnt(0)
	ds_read_b128 v[128:131], v159
	ds_read_b128 v[144:147], v159 offset:1296
	ds_read_b128 v[140:143], v159 offset:2592
	;; [unrolled: 1-line block ×6, first 2 shown]
	s_and_saveexec_b64 s[0:1], vcc
	s_cbranch_execz .LBB0_11
; %bb.10:
	ds_read_b128 v[120:123], v159 offset:1008
	ds_read_b128 v[124:127], v159 offset:2304
	;; [unrolled: 1-line block ×7, first 2 shown]
.LBB0_11:
	s_or_b64 exec, exec, s[0:1]
	s_waitcnt lgkmcnt(0)
	v_add_f64 v[165:166], v[144:145], v[152:153]
	v_add_f64 v[167:168], v[146:147], v[154:155]
	v_add_f64 v[144:145], v[144:145], -v[152:153]
	v_add_f64 v[146:147], v[146:147], -v[154:155]
	v_add_f64 v[152:153], v[140:141], v[148:149]
	v_add_f64 v[154:155], v[142:143], v[150:151]
	v_add_f64 v[140:141], v[140:141], -v[148:149]
	v_add_f64 v[142:143], v[142:143], -v[150:151]
	v_add_f64 v[148:149], v[132:133], v[136:137]
	v_add_f64 v[150:151], v[134:135], v[138:139]
	v_add_f64 v[132:133], v[136:137], -v[132:133]
	v_add_f64 v[134:135], v[138:139], -v[134:135]
	v_add_f64 v[136:137], v[152:153], v[165:166]
	v_add_f64 v[138:139], v[154:155], v[167:168]
	v_add_f64 v[169:170], v[152:153], -v[165:166]
	v_add_f64 v[171:172], v[154:155], -v[167:168]
	v_add_f64 v[165:166], v[165:166], -v[148:149]
	v_add_f64 v[167:168], v[167:168], -v[150:151]
	;; [unrolled: 1-line block ×4, first 2 shown]
	v_add_f64 v[173:174], v[132:133], v[140:141]
	v_add_f64 v[175:176], v[134:135], v[142:143]
	v_add_f64 v[177:178], v[132:133], -v[140:141]
	v_add_f64 v[179:180], v[134:135], -v[142:143]
	v_add_f64 v[136:137], v[148:149], v[136:137]
	v_add_f64 v[138:139], v[150:151], v[138:139]
	v_add_f64 v[140:141], v[140:141], -v[144:145]
	v_add_f64 v[142:143], v[142:143], -v[146:147]
	s_mov_b32 s2, 0x37e14327
	s_mov_b32 s4, 0x36b3c0b5
	s_mov_b32 s14, 0xe976ee23
	s_mov_b32 s3, 0x3fe948f6
	s_mov_b32 s5, 0x3fac98ee
	s_mov_b32 s15, 0x3fe11646
	s_mov_b32 s0, 0x429ad128
	v_add_f64 v[132:133], v[144:145], -v[132:133]
	v_add_f64 v[134:135], v[146:147], -v[134:135]
	v_add_f64 v[144:145], v[173:174], v[144:145]
	v_add_f64 v[146:147], v[175:176], v[146:147]
	;; [unrolled: 1-line block ×4, first 2 shown]
	v_mul_f64 v[148:149], v[165:166], s[2:3]
	v_mul_f64 v[150:151], v[167:168], s[2:3]
	;; [unrolled: 1-line block ×6, first 2 shown]
	s_mov_b32 s1, 0xbfebfeb5
	v_mul_f64 v[177:178], v[140:141], s[0:1]
	v_mul_f64 v[179:180], v[142:143], s[0:1]
	s_mov_b32 s16, 0xaaaaaaaa
	s_mov_b32 s12, 0x5476071b
	;; [unrolled: 1-line block ×8, first 2 shown]
	v_fma_f64 v[136:137], v[136:137], s[16:17], v[128:129]
	v_fma_f64 v[138:139], v[138:139], s[16:17], v[130:131]
	;; [unrolled: 1-line block ×4, first 2 shown]
	v_fma_f64 v[165:166], v[169:170], s[12:13], -v[165:166]
	v_fma_f64 v[167:168], v[171:172], s[12:13], -v[167:168]
	;; [unrolled: 1-line block ×4, first 2 shown]
	v_fma_f64 v[169:170], v[132:133], s[24:25], v[173:174]
	v_fma_f64 v[171:172], v[134:135], s[24:25], v[175:176]
	s_mov_b32 s23, 0x3fd5d0dc
	s_mov_b32 s22, s24
	v_fma_f64 v[132:133], v[132:133], s[22:23], -v[177:178]
	v_fma_f64 v[134:135], v[134:135], s[22:23], -v[179:180]
	;; [unrolled: 1-line block ×4, first 2 shown]
	s_mov_b32 s20, 0x37c3f68c
	s_mov_b32 s21, 0xbfdc38aa
	v_add_f64 v[152:153], v[152:153], v[136:137]
	v_add_f64 v[154:155], v[154:155], v[138:139]
	v_fma_f64 v[171:172], v[146:147], s[20:21], v[171:172]
	v_fma_f64 v[169:170], v[144:145], s[20:21], v[169:170]
	v_add_f64 v[148:149], v[148:149], v[136:137]
	v_add_f64 v[150:151], v[150:151], v[138:139]
	v_fma_f64 v[173:174], v[146:147], s[20:21], v[134:135]
	v_fma_f64 v[175:176], v[144:145], s[20:21], v[132:133]
	v_add_f64 v[165:166], v[165:166], v[136:137]
	v_add_f64 v[167:168], v[167:168], v[138:139]
	v_fma_f64 v[146:147], v[146:147], s[20:21], v[142:143]
	v_fma_f64 v[177:178], v[144:145], s[20:21], v[140:141]
	v_add_f64 v[132:133], v[152:153], v[171:172]
	v_add_f64 v[134:135], v[154:155], -v[169:170]
	v_add_f64 v[136:137], v[148:149], v[173:174]
	v_add_f64 v[138:139], v[150:151], -v[175:176]
	v_add_f64 v[148:149], v[148:149], -v[173:174]
	v_add_f64 v[150:151], v[175:176], v[150:151]
	v_add_f64 v[140:141], v[165:166], -v[146:147]
	v_add_f64 v[142:143], v[177:178], v[167:168]
	v_add_f64 v[144:145], v[165:166], v[146:147]
	v_add_f64 v[146:147], v[167:168], -v[177:178]
	v_add_f64 v[152:153], v[152:153], -v[171:172]
	v_add_f64 v[154:155], v[169:170], v[154:155]
	s_waitcnt lgkmcnt(0)
	; wave barrier
	ds_write_b128 v162, v[128:131]
	ds_write_b128 v162, v[132:135] offset:16
	ds_write_b128 v162, v[136:139] offset:32
	;; [unrolled: 1-line block ×6, first 2 shown]
	s_and_saveexec_b64 s[26:27], vcc
	s_cbranch_execz .LBB0_13
; %bb.12:
	v_add_f64 v[128:129], v[126:127], v[78:79]
	v_add_f64 v[130:131], v[62:63], v[74:75]
	v_add_f64 v[134:135], v[68:69], -v[64:65]
	v_add_f64 v[136:137], v[60:61], -v[72:73]
	v_add_f64 v[138:139], v[66:67], v[70:71]
	v_add_f64 v[72:73], v[60:61], v[72:73]
	v_add_f64 v[132:133], v[124:125], -v[76:77]
	v_add_f64 v[76:77], v[124:125], v[76:77]
	v_add_f64 v[64:65], v[64:65], v[68:69]
	;; [unrolled: 1-line block ×3, first 2 shown]
	v_add_f64 v[68:69], v[126:127], -v[78:79]
	v_add_f64 v[66:67], v[70:71], -v[66:67]
	v_add_f64 v[70:71], v[62:63], -v[74:75]
	v_add_f64 v[62:63], v[134:135], -v[136:137]
	v_add_f64 v[78:79], v[128:129], -v[138:139]
	v_add_f64 v[74:75], v[132:133], -v[134:135]
	v_add_f64 v[124:125], v[134:135], v[136:137]
	v_add_f64 v[60:61], v[138:139], v[60:61]
	;; [unrolled: 1-line block ×3, first 2 shown]
	v_add_f64 v[136:137], v[136:137], -v[132:133]
	v_add_f64 v[126:127], v[138:139], -v[130:131]
	v_mul_f64 v[142:143], v[62:63], s[14:15]
	v_mul_f64 v[78:79], v[78:79], s[2:3]
	v_add_f64 v[138:139], v[76:77], -v[64:65]
	v_add_f64 v[140:141], v[64:65], -v[72:73]
	v_add_f64 v[62:63], v[122:123], v[60:61]
	v_add_f64 v[144:145], v[66:67], -v[70:71]
	v_add_f64 v[64:65], v[64:65], v[134:135]
	v_add_f64 v[122:123], v[68:69], -v[66:67]
	v_add_f64 v[148:149], v[66:67], v[70:71]
	v_add_f64 v[70:71], v[70:71], -v[68:69]
	v_mul_f64 v[66:67], v[136:137], s[0:1]
	v_add_f64 v[124:125], v[124:125], v[132:133]
	v_fma_f64 v[132:133], v[74:75], s[24:25], v[142:143]
	v_fma_f64 v[134:135], v[126:127], s[4:5], v[78:79]
	;; [unrolled: 1-line block ×3, first 2 shown]
	v_add_f64 v[128:129], v[130:131], -v[128:129]
	v_mul_f64 v[130:131], v[138:139], s[2:3]
	v_add_f64 v[60:61], v[120:121], v[64:65]
	v_mul_f64 v[126:127], v[126:127], s[4:5]
	v_mul_f64 v[138:139], v[144:145], s[14:15]
	v_fma_f64 v[74:75], v[74:75], s[22:23], -v[66:67]
	v_add_f64 v[72:73], v[72:73], -v[76:77]
	v_mul_f64 v[76:77], v[70:71], s[0:1]
	v_fma_f64 v[120:121], v[124:125], s[20:21], v[132:133]
	v_add_f64 v[132:133], v[134:135], v[146:147]
	v_mul_f64 v[134:135], v[140:141], s[4:5]
	v_fma_f64 v[140:141], v[140:141], s[4:5], v[130:131]
	v_fma_f64 v[78:79], v[128:129], s[18:19], -v[78:79]
	v_fma_f64 v[64:65], v[64:65], s[16:17], v[60:61]
	v_fma_f64 v[144:145], v[122:123], s[24:25], v[138:139]
	v_add_f64 v[68:69], v[148:149], v[68:69]
	v_fma_f64 v[126:127], v[128:129], s[12:13], -v[126:127]
	v_fma_f64 v[128:129], v[136:137], s[0:1], -v[142:143]
	v_fma_f64 v[136:137], v[124:125], s[20:21], v[74:75]
	v_fma_f64 v[74:75], v[72:73], s[18:19], -v[130:131]
	v_fma_f64 v[76:77], v[122:123], s[22:23], -v[76:77]
	;; [unrolled: 1-line block ×4, first 2 shown]
	v_fma_f64 v[130:131], v[68:69], s[20:21], v[144:145]
	v_add_f64 v[142:143], v[78:79], v[146:147]
	v_fma_f64 v[122:123], v[124:125], s[20:21], v[128:129]
	v_add_f64 v[128:129], v[140:141], v[64:65]
	v_add_f64 v[78:79], v[126:127], v[146:147]
	;; [unrolled: 1-line block ×3, first 2 shown]
	v_fma_f64 v[138:139], v[68:69], s[20:21], v[76:77]
	v_add_f64 v[64:65], v[72:73], v[64:65]
	v_fma_f64 v[68:69], v[68:69], s[20:21], v[70:71]
	v_add_f64 v[126:127], v[132:133], -v[120:121]
	v_add_f64 v[66:67], v[120:121], v[132:133]
	v_add_f64 v[124:125], v[128:129], v[130:131]
	v_add_f64 v[74:75], v[78:79], -v[122:123]
	v_add_f64 v[78:79], v[122:123], v[78:79]
	v_add_f64 v[122:123], v[142:143], -v[136:137]
	;; [unrolled: 2-line block ×3, first 2 shown]
	v_add_f64 v[72:73], v[64:65], v[68:69]
	v_add_f64 v[70:71], v[136:137], v[142:143]
	v_add_f64 v[68:69], v[134:135], -v[138:139]
	v_add_f64 v[64:65], v[128:129], -v[130:131]
	v_lshlrev_b32_e32 v128, 4, v161
	ds_write_b128 v128, v[60:63]
	ds_write_b128 v128, v[124:127] offset:16
	ds_write_b128 v128, v[120:123] offset:32
	;; [unrolled: 1-line block ×6, first 2 shown]
.LBB0_13:
	s_or_b64 exec, exec, s[26:27]
	s_waitcnt lgkmcnt(0)
	; wave barrier
	s_waitcnt lgkmcnt(0)
	ds_read_b128 v[60:63], v159
	ds_read_b128 v[64:67], v159 offset:1008
	ds_read_b128 v[68:71], v159 offset:2016
	;; [unrolled: 1-line block ×5, first 2 shown]
	s_waitcnt lgkmcnt(4)
	v_mul_f64 v[136:137], v[42:43], v[66:67]
	v_mul_f64 v[42:43], v[42:43], v[64:65]
	s_waitcnt lgkmcnt(3)
	v_mul_f64 v[138:139], v[38:39], v[70:71]
	v_mul_f64 v[38:39], v[38:39], v[68:69]
	s_waitcnt lgkmcnt(2)
	v_mul_f64 v[140:141], v[34:35], v[74:75]
	v_mul_f64 v[34:35], v[34:35], v[72:73]
	ds_read_b128 v[124:127], v159 offset:6048
	ds_read_b128 v[128:131], v159 offset:7056
	;; [unrolled: 1-line block ×3, first 2 shown]
	s_mov_b32 s5, 0x3fe491b7
	v_fma_f64 v[64:65], v[40:41], v[64:65], v[136:137]
	v_fma_f64 v[40:41], v[40:41], v[66:67], -v[42:43]
	s_waitcnt lgkmcnt(4)
	v_mul_f64 v[42:43], v[30:31], v[78:79]
	v_mul_f64 v[30:31], v[30:31], v[76:77]
	v_fma_f64 v[66:67], v[36:37], v[68:69], v[138:139]
	v_fma_f64 v[36:37], v[36:37], v[70:71], -v[38:39]
	v_fma_f64 v[38:39], v[32:33], v[72:73], v[140:141]
	v_fma_f64 v[32:33], v[32:33], v[74:75], -v[34:35]
	s_waitcnt lgkmcnt(0)
	v_mul_f64 v[34:35], v[58:59], v[134:135]
	v_mul_f64 v[58:59], v[58:59], v[132:133]
	v_fma_f64 v[42:43], v[28:29], v[76:77], v[42:43]
	v_fma_f64 v[68:69], v[28:29], v[78:79], -v[30:31]
	v_mul_f64 v[28:29], v[54:55], v[130:131]
	v_mul_f64 v[30:31], v[54:55], v[128:129]
	;; [unrolled: 1-line block ×4, first 2 shown]
	v_fma_f64 v[34:35], v[56:57], v[132:133], v[34:35]
	v_fma_f64 v[56:57], v[56:57], v[134:135], -v[58:59]
	v_mul_f64 v[58:59], v[46:47], v[126:127]
	v_mul_f64 v[46:47], v[46:47], v[124:125]
	v_fma_f64 v[28:29], v[52:53], v[128:129], v[28:29]
	v_fma_f64 v[30:31], v[52:53], v[130:131], -v[30:31]
	v_fma_f64 v[52:53], v[48:49], v[120:121], v[54:55]
	v_fma_f64 v[48:49], v[48:49], v[122:123], -v[50:51]
	v_add_f64 v[50:51], v[64:65], -v[34:35]
	v_add_f64 v[54:55], v[40:41], -v[56:57]
	s_mov_b32 s4, 0x523c161c
	v_fma_f64 v[58:59], v[44:45], v[124:125], v[58:59]
	v_fma_f64 v[44:45], v[44:45], v[126:127], -v[46:47]
	v_add_f64 v[46:47], v[66:67], -v[28:29]
	v_add_f64 v[70:71], v[36:37], -v[30:31]
	s_mov_b32 s14, 0x8c811c17
	v_mul_f64 v[72:73], v[50:51], s[4:5]
	v_mul_f64 v[74:75], v[54:55], s[4:5]
	s_mov_b32 s15, 0x3fef838b
	v_add_f64 v[64:65], v[64:65], v[34:35]
	v_add_f64 v[40:41], v[40:41], v[56:57]
	v_add_f64 v[56:57], v[38:39], -v[58:59]
	v_add_f64 v[76:77], v[32:33], -v[44:45]
	s_mov_b32 s16, 0xa2cf5039
	v_fma_f64 v[34:35], v[46:47], s[14:15], v[72:73]
	v_fma_f64 v[72:73], v[70:71], s[14:15], v[74:75]
	s_mov_b32 s1, 0x3febb67a
	s_mov_b32 s0, 0xe8584cab
	s_mov_b32 s17, 0x3fe8836f
	v_add_f64 v[66:67], v[66:67], v[28:29]
	v_add_f64 v[74:75], v[36:37], v[30:31]
	;; [unrolled: 1-line block ×3, first 2 shown]
	v_fma_f64 v[28:29], v[56:57], s[0:1], v[34:35]
	v_fma_f64 v[30:31], v[76:77], s[0:1], v[72:73]
	v_add_f64 v[72:73], v[42:43], -v[52:53]
	v_add_f64 v[78:79], v[68:69], -v[48:49]
	v_fma_f64 v[32:33], v[64:65], s[16:17], v[60:61]
	v_fma_f64 v[34:35], v[40:41], s[16:17], v[62:63]
	v_add_f64 v[120:121], v[42:43], v[52:53]
	v_add_f64 v[122:123], v[68:69], v[48:49]
	s_mov_b32 s12, 0x748a0bf8
	s_mov_b32 s18, 0x7e0b738b
	;; [unrolled: 1-line block ×5, first 2 shown]
	v_add_f64 v[58:59], v[38:39], v[58:59]
	v_fma_f64 v[36:37], v[72:73], s[12:13], v[28:29]
	v_fma_f64 v[28:29], v[66:67], s[18:19], v[32:33]
	;; [unrolled: 1-line block ×4, first 2 shown]
	v_mul_f64 v[30:31], v[72:73], s[4:5]
	v_mul_f64 v[38:39], v[78:79], s[4:5]
	v_fma_f64 v[124:125], v[120:121], s[16:17], v[60:61]
	v_fma_f64 v[126:127], v[122:123], s[16:17], v[62:63]
	s_mov_b32 s20, 0x42522d1b
	v_fma_f64 v[28:29], v[58:59], -0.5, v[28:29]
	v_fma_f64 v[32:33], v[44:45], -0.5, v[32:33]
	s_mov_b32 s21, 0xbfee11f6
	v_fma_f64 v[30:31], v[50:51], s[14:15], v[30:31]
	v_fma_f64 v[38:39], v[54:55], s[14:15], v[38:39]
	;; [unrolled: 1-line block ×4, first 2 shown]
	s_mov_b32 s3, 0xbfebb67a
	s_mov_b32 s2, s0
	v_fma_f64 v[28:29], v[120:121], s[20:21], v[28:29]
	v_fma_f64 v[32:33], v[122:123], s[20:21], v[32:33]
	;; [unrolled: 1-line block ×4, first 2 shown]
	v_fma_f64 v[124:125], v[58:59], -0.5, v[124:125]
	v_fma_f64 v[126:127], v[44:45], -0.5, v[126:127]
	v_add_f64 v[132:133], v[78:79], v[54:55]
	v_mul_f64 v[78:79], v[78:79], s[14:15]
	v_add_f64 v[28:29], v[28:29], -v[34:35]
	v_add_f64 v[30:31], v[36:37], v[32:33]
	v_fma_f64 v[128:129], v[46:47], s[12:13], v[128:129]
	v_fma_f64 v[130:131], v[70:71], s[12:13], v[38:39]
	;; [unrolled: 1-line block ×4, first 2 shown]
	v_add_f64 v[126:127], v[72:73], v[50:51]
	v_mul_f64 v[72:73], v[72:73], s[14:15]
	v_fma_f64 v[32:33], v[34:35], 2.0, v[28:29]
	v_fma_f64 v[34:35], v[36:37], -2.0, v[30:31]
	v_fma_f64 v[134:135], v[74:75], s[16:17], v[62:63]
	v_add_f64 v[74:75], v[74:75], v[40:41]
	v_add_f64 v[36:37], v[38:39], -v[130:131]
	v_add_f64 v[38:39], v[128:129], v[124:125]
	v_add_f64 v[124:125], v[126:127], -v[46:47]
	v_add_f64 v[126:127], v[132:133], -v[70:71]
	v_fma_f64 v[132:133], v[66:67], s[16:17], v[60:61]
	v_add_f64 v[66:67], v[66:67], v[64:65]
	v_fma_f64 v[46:47], v[46:47], s[4:5], -v[72:73]
	v_fma_f64 v[70:71], v[70:71], s[4:5], -v[78:79]
	v_fma_f64 v[78:79], v[122:123], s[18:19], v[134:135]
	v_add_f64 v[136:137], v[60:61], v[58:59]
	v_add_f64 v[138:139], v[62:63], v[44:45]
	v_fma_f64 v[72:73], v[120:121], s[18:19], v[132:133]
	v_add_f64 v[120:121], v[120:121], v[66:67]
	v_add_f64 v[66:67], v[58:59], v[66:67]
	;; [unrolled: 1-line block ×4, first 2 shown]
	v_fma_f64 v[46:47], v[56:57], s[0:1], v[46:47]
	v_fma_f64 v[56:57], v[76:77], s[0:1], v[70:71]
	v_fma_f64 v[44:45], v[44:45], -0.5, v[78:79]
	v_fma_f64 v[58:59], v[58:59], -0.5, v[72:73]
	;; [unrolled: 1-line block ×3, first 2 shown]
	v_add_f64 v[42:43], v[42:43], v[66:67]
	v_add_f64 v[66:67], v[68:69], v[132:133]
	v_fma_f64 v[68:69], v[74:75], -0.5, v[138:139]
	v_fma_f64 v[72:73], v[50:51], s[12:13], v[46:47]
	v_fma_f64 v[74:75], v[54:55], s[12:13], v[56:57]
	;; [unrolled: 1-line block ×4, first 2 shown]
	v_mul_f64 v[58:59], v[124:125], s[0:1]
	v_add_f64 v[52:53], v[52:53], v[42:43]
	v_add_f64 v[54:55], v[48:49], v[66:67]
	v_mul_f64 v[56:57], v[126:127], s[0:1]
	v_fma_f64 v[40:41], v[126:127], s[2:3], v[70:71]
	v_fma_f64 v[42:43], v[124:125], s[0:1], v[68:69]
	v_fma_f64 v[48:49], v[130:131], 2.0, v[36:37]
	v_add_f64 v[44:45], v[46:47], -v[74:75]
	v_add_f64 v[46:47], v[72:73], v[50:51]
	v_add_f64 v[52:53], v[60:61], v[52:53]
	;; [unrolled: 1-line block ×3, first 2 shown]
	v_fma_f64 v[50:51], v[128:129], -2.0, v[38:39]
	v_fma_f64 v[56:57], v[56:57], 2.0, v[40:41]
	v_fma_f64 v[58:59], v[58:59], -2.0, v[42:43]
	; wave barrier
	v_fma_f64 v[60:61], v[74:75], 2.0, v[44:45]
	v_fma_f64 v[62:63], v[72:73], -2.0, v[46:47]
	ds_write_b128 v163, v[52:55]
	ds_write_b128 v163, v[28:31] offset:112
	ds_write_b128 v163, v[36:39] offset:224
	;; [unrolled: 1-line block ×8, first 2 shown]
	s_waitcnt lgkmcnt(0)
	; wave barrier
	s_waitcnt lgkmcnt(0)
	ds_read_b128 v[28:31], v159 offset:3024
	ds_read_b128 v[32:35], v159
	ds_read_b128 v[36:39], v159 offset:1008
	ds_read_b128 v[40:43], v159 offset:6048
	;; [unrolled: 1-line block ×6, first 2 shown]
	s_waitcnt lgkmcnt(7)
	v_mul_f64 v[64:65], v[86:87], v[30:31]
	s_waitcnt lgkmcnt(4)
	v_mul_f64 v[68:69], v[82:83], v[42:43]
	v_mul_f64 v[66:67], v[86:87], v[28:29]
	;; [unrolled: 1-line block ×3, first 2 shown]
	s_waitcnt lgkmcnt(1)
	v_mul_f64 v[72:73], v[86:87], v[54:55]
	v_mul_f64 v[74:75], v[86:87], v[52:53]
	ds_read_b128 v[60:63], v159 offset:8064
	s_mov_b32 s2, 0xe8584caa
	v_fma_f64 v[64:65], v[84:85], v[28:29], v[64:65]
	v_fma_f64 v[40:41], v[80:81], v[40:41], v[68:69]
	v_mul_f64 v[28:29], v[82:83], v[46:47]
	v_fma_f64 v[30:31], v[84:85], v[30:31], -v[66:67]
	v_fma_f64 v[42:43], v[80:81], v[42:43], -v[70:71]
	v_mul_f64 v[66:67], v[82:83], v[44:45]
	v_fma_f64 v[68:69], v[84:85], v[52:53], v[72:73]
	s_waitcnt lgkmcnt(1)
	v_mul_f64 v[52:53], v[94:95], v[58:59]
	v_fma_f64 v[54:55], v[84:85], v[54:55], -v[74:75]
	v_mul_f64 v[70:71], v[94:95], v[56:57]
	s_waitcnt lgkmcnt(0)
	v_mul_f64 v[72:73], v[90:91], v[62:63]
	v_fma_f64 v[74:75], v[80:81], v[44:45], v[28:29]
	v_add_f64 v[28:29], v[64:65], v[40:41]
	v_fma_f64 v[46:47], v[80:81], v[46:47], -v[66:67]
	v_mul_f64 v[44:45], v[90:91], v[60:61]
	v_add_f64 v[66:67], v[32:33], v[64:65]
	v_fma_f64 v[56:57], v[92:93], v[56:57], v[52:53]
	v_add_f64 v[52:53], v[30:31], v[42:43]
	v_fma_f64 v[58:59], v[92:93], v[58:59], -v[70:71]
	v_fma_f64 v[60:61], v[88:89], v[60:61], v[72:73]
	v_fma_f64 v[70:71], v[28:29], -0.5, v[32:33]
	v_add_f64 v[72:73], v[30:31], -v[42:43]
	v_fma_f64 v[62:63], v[88:89], v[62:63], -v[44:45]
	v_add_f64 v[28:29], v[66:67], v[40:41]
	v_add_f64 v[44:45], v[68:69], v[74:75]
	;; [unrolled: 1-line block ×3, first 2 shown]
	v_fma_f64 v[52:53], v[52:53], -0.5, v[34:35]
	v_add_f64 v[64:65], v[64:65], -v[40:41]
	v_add_f64 v[66:67], v[36:37], v[68:69]
	s_mov_b32 s0, s2
	v_fma_f64 v[32:33], v[72:73], s[2:3], v[70:71]
	v_fma_f64 v[40:41], v[72:73], s[0:1], v[70:71]
	v_add_f64 v[70:71], v[54:55], v[46:47]
	v_fma_f64 v[76:77], v[44:45], -0.5, v[36:37]
	v_add_f64 v[78:79], v[54:55], -v[46:47]
	v_add_f64 v[30:31], v[30:31], v[42:43]
	v_fma_f64 v[34:35], v[64:65], s[0:1], v[52:53]
	v_fma_f64 v[42:43], v[64:65], s[2:3], v[52:53]
	v_add_f64 v[36:37], v[66:67], v[74:75]
	v_add_f64 v[64:65], v[56:57], v[60:61]
	;; [unrolled: 1-line block ×4, first 2 shown]
	v_fma_f64 v[70:71], v[70:71], -0.5, v[38:39]
	v_add_f64 v[68:69], v[68:69], -v[74:75]
	v_add_f64 v[72:73], v[48:49], v[56:57]
	v_add_f64 v[74:75], v[58:59], -v[62:63]
	v_add_f64 v[58:59], v[50:51], v[58:59]
	v_fma_f64 v[44:45], v[78:79], s[2:3], v[76:77]
	v_fma_f64 v[52:53], v[78:79], s[0:1], v[76:77]
	v_fma_f64 v[64:65], v[64:65], -0.5, v[48:49]
	v_fma_f64 v[66:67], v[66:67], -0.5, v[50:51]
	v_add_f64 v[76:77], v[56:57], -v[60:61]
	v_add_f64 v[38:39], v[54:55], v[46:47]
	v_fma_f64 v[46:47], v[68:69], s[0:1], v[70:71]
	v_fma_f64 v[54:55], v[68:69], s[2:3], v[70:71]
	v_add_f64 v[48:49], v[72:73], v[60:61]
	v_add_f64 v[50:51], v[58:59], v[62:63]
	v_fma_f64 v[56:57], v[74:75], s[2:3], v[64:65]
	v_fma_f64 v[60:61], v[74:75], s[0:1], v[64:65]
	;; [unrolled: 1-line block ×4, first 2 shown]
	s_waitcnt lgkmcnt(0)
	; wave barrier
	ds_write_b128 v159, v[28:31]
	ds_write_b128 v159, v[32:35] offset:1008
	ds_write_b128 v159, v[40:43] offset:2016
	ds_write_b128 v159, v[36:39] offset:3024
	ds_write_b128 v159, v[44:47] offset:4032
	ds_write_b128 v159, v[52:55] offset:5040
	ds_write_b128 v164, v[48:51] offset:6048
	ds_write_b128 v164, v[56:59] offset:7056
	ds_write_b128 v164, v[60:63] offset:8064
	s_waitcnt lgkmcnt(0)
	; wave barrier
	s_waitcnt lgkmcnt(0)
	ds_read_b128 v[28:31], v159 offset:3024
	ds_read_b128 v[32:35], v159
	ds_read_b128 v[36:39], v159 offset:1008
	ds_read_b128 v[40:43], v159 offset:2016
	;; [unrolled: 1-line block ×4, first 2 shown]
	s_waitcnt lgkmcnt(5)
	v_mul_f64 v[64:65], v[106:107], v[30:31]
	v_mul_f64 v[66:67], v[106:107], v[28:29]
	ds_read_b128 v[52:55], v159 offset:4032
	ds_read_b128 v[56:59], v159 offset:5040
	s_waitcnt lgkmcnt(3)
	v_mul_f64 v[68:69], v[98:99], v[46:47]
	v_mul_f64 v[70:71], v[98:99], v[44:45]
	s_waitcnt lgkmcnt(2)
	v_mul_f64 v[72:73], v[110:111], v[50:51]
	ds_read_b128 v[60:63], v159 offset:8064
	v_fma_f64 v[28:29], v[104:105], v[28:29], v[64:65]
	s_waitcnt lgkmcnt(2)
	v_mul_f64 v[64:65], v[114:115], v[54:55]
	v_fma_f64 v[30:31], v[104:105], v[30:31], -v[66:67]
	v_mul_f64 v[66:67], v[114:115], v[52:53]
	v_fma_f64 v[44:45], v[96:97], v[44:45], v[68:69]
	v_mul_f64 v[68:69], v[110:111], v[48:49]
	v_fma_f64 v[46:47], v[96:97], v[46:47], -v[70:71]
	s_waitcnt lgkmcnt(1)
	v_mul_f64 v[70:71], v[118:119], v[58:59]
	v_fma_f64 v[64:65], v[112:113], v[52:53], v[64:65]
	v_mul_f64 v[52:53], v[118:119], v[56:57]
	v_fma_f64 v[54:55], v[112:113], v[54:55], -v[66:67]
	v_fma_f64 v[66:67], v[108:109], v[48:49], v[72:73]
	v_fma_f64 v[50:51], v[108:109], v[50:51], -v[68:69]
	s_waitcnt lgkmcnt(0)
	v_mul_f64 v[68:69], v[102:103], v[62:63]
	v_add_f64 v[48:49], v[28:29], v[44:45]
	v_fma_f64 v[56:57], v[116:117], v[56:57], v[70:71]
	v_mul_f64 v[70:71], v[102:103], v[60:61]
	v_fma_f64 v[58:59], v[116:117], v[58:59], -v[52:53]
	v_add_f64 v[52:53], v[30:31], v[46:47]
	v_add_f64 v[72:73], v[32:33], v[28:29]
	v_add_f64 v[74:75], v[30:31], -v[46:47]
	v_fma_f64 v[60:61], v[100:101], v[60:61], v[68:69]
	v_add_f64 v[68:69], v[64:65], v[66:67]
	v_fma_f64 v[48:49], v[48:49], -0.5, v[32:33]
	v_fma_f64 v[62:63], v[100:101], v[62:63], -v[70:71]
	v_add_f64 v[30:31], v[34:35], v[30:31]
	v_fma_f64 v[52:53], v[52:53], -0.5, v[34:35]
	v_add_f64 v[70:71], v[28:29], -v[44:45]
	v_add_f64 v[76:77], v[54:55], -v[50:51]
	v_add_f64 v[28:29], v[72:73], v[44:45]
	v_fma_f64 v[68:69], v[68:69], -0.5, v[36:37]
	v_fma_f64 v[32:33], v[74:75], s[2:3], v[48:49]
	v_add_f64 v[72:73], v[36:37], v[64:65]
	v_fma_f64 v[44:45], v[74:75], s[0:1], v[48:49]
	v_add_f64 v[74:75], v[54:55], v[50:51]
	v_add_f64 v[30:31], v[30:31], v[46:47]
	v_fma_f64 v[34:35], v[70:71], s[0:1], v[52:53]
	v_fma_f64 v[46:47], v[70:71], s[2:3], v[52:53]
	v_add_f64 v[70:71], v[56:57], v[60:61]
	v_fma_f64 v[48:49], v[76:77], s[2:3], v[68:69]
	v_fma_f64 v[52:53], v[76:77], s[0:1], v[68:69]
	v_add_f64 v[68:69], v[58:59], v[62:63]
	v_add_f64 v[54:55], v[38:39], v[54:55]
	;; [unrolled: 1-line block ×3, first 2 shown]
	v_fma_f64 v[72:73], v[74:75], -0.5, v[38:39]
	v_add_f64 v[64:65], v[64:65], -v[66:67]
	v_add_f64 v[66:67], v[40:41], v[56:57]
	v_add_f64 v[74:75], v[58:59], -v[62:63]
	v_add_f64 v[58:59], v[42:43], v[58:59]
	v_fma_f64 v[70:71], v[70:71], -0.5, v[40:41]
	v_fma_f64 v[68:69], v[68:69], -0.5, v[42:43]
	v_add_f64 v[76:77], v[56:57], -v[60:61]
	v_add_f64 v[38:39], v[54:55], v[50:51]
	v_fma_f64 v[50:51], v[64:65], s[0:1], v[72:73]
	v_fma_f64 v[54:55], v[64:65], s[2:3], v[72:73]
	v_add_f64 v[40:41], v[66:67], v[60:61]
	v_add_f64 v[42:43], v[58:59], v[62:63]
	v_fma_f64 v[56:57], v[74:75], s[2:3], v[70:71]
	v_fma_f64 v[60:61], v[74:75], s[0:1], v[70:71]
	;; [unrolled: 1-line block ×4, first 2 shown]
	ds_write_b128 v159, v[28:31]
	ds_write_b128 v159, v[32:35] offset:3024
	ds_write_b128 v159, v[44:47] offset:6048
	;; [unrolled: 1-line block ×8, first 2 shown]
	s_waitcnt lgkmcnt(0)
	; wave barrier
	s_waitcnt lgkmcnt(0)
	ds_read_b128 v[28:31], v159
	ds_read_b128 v[32:35], v159 offset:1296
	v_mad_u64_u32 v[36:37], s[0:1], s10, v158, 0
	s_mov_b32 s2, 0x8eac7900
	s_waitcnt lgkmcnt(1)
	v_mul_f64 v[38:39], v[26:27], v[30:31]
	v_mul_f64 v[26:27], v[26:27], v[28:29]
	s_mov_b32 s3, 0x3f5ce55c
	v_mad_u64_u32 v[40:41], s[0:1], s11, v158, v[37:38]
	v_mad_u64_u32 v[41:42], s[0:1], s8, v160, 0
	v_fma_f64 v[28:29], v[24:25], v[28:29], v[38:39]
	v_fma_f64 v[26:27], v[24:25], v[30:31], -v[26:27]
	v_mov_b32_e32 v24, v42
	v_mad_u64_u32 v[30:31], s[0:1], s9, v160, v[24:25]
	v_mov_b32_e32 v37, v40
	v_mov_b32_e32 v42, v30
	s_waitcnt lgkmcnt(0)
	v_mul_f64 v[30:31], v[18:19], v[34:35]
	v_mul_f64 v[18:19], v[18:19], v[32:33]
	;; [unrolled: 1-line block ×4, first 2 shown]
	v_lshlrev_b64 v[28:29], 4, v[36:37]
	v_mov_b32_e32 v36, s7
	v_add_co_u32_e64 v37, s[0:1], s6, v28
	v_fma_f64 v[30:31], v[16:17], v[32:33], v[30:31]
	v_fma_f64 v[32:33], v[16:17], v[34:35], -v[18:19]
	ds_read_b128 v[16:19], v159 offset:2592
	v_addc_co_u32_e64 v36, s[0:1], v36, v29, s[0:1]
	v_lshlrev_b64 v[28:29], 4, v[41:42]
	v_add_co_u32_e64 v34, s[0:1], v37, v28
	v_addc_co_u32_e64 v35, s[0:1], v36, v29, s[0:1]
	global_store_dwordx4 v[34:35], v[24:27], off
	s_mul_i32 s0, s9, 0x51
	v_mul_f64 v[24:25], v[30:31], s[2:3]
	ds_read_b128 v[28:31], v159 offset:3888
	v_mul_f64 v[26:27], v[32:33], s[2:3]
	s_waitcnt lgkmcnt(1)
	v_mul_f64 v[32:33], v[22:23], v[18:19]
	v_mul_f64 v[22:23], v[22:23], v[16:17]
	s_mul_hi_u32 s1, s8, 0x51
	s_add_i32 s1, s1, s0
	s_mul_i32 s0, s8, 0x51
	s_lshl_b64 s[4:5], s[0:1], 4
	v_mov_b32_e32 v36, s5
	v_add_co_u32_e64 v34, s[0:1], s4, v34
	v_fma_f64 v[16:17], v[20:21], v[16:17], v[32:33]
	v_fma_f64 v[18:19], v[20:21], v[18:19], -v[22:23]
	s_waitcnt lgkmcnt(0)
	v_mul_f64 v[32:33], v[6:7], v[30:31]
	v_mul_f64 v[6:7], v[6:7], v[28:29]
	ds_read_b128 v[20:23], v159 offset:5184
	v_addc_co_u32_e64 v35, s[0:1], v35, v36, s[0:1]
	global_store_dwordx4 v[34:35], v[24:27], off
	v_mul_f64 v[16:17], v[16:17], s[2:3]
	v_mul_f64 v[18:19], v[18:19], s[2:3]
	v_fma_f64 v[24:25], v[4:5], v[28:29], v[32:33]
	v_fma_f64 v[26:27], v[4:5], v[30:31], -v[6:7]
	ds_read_b128 v[4:7], v159 offset:6480
	s_waitcnt lgkmcnt(1)
	v_mul_f64 v[28:29], v[10:11], v[22:23]
	v_mul_f64 v[10:11], v[10:11], v[20:21]
	v_add_co_u32_e64 v30, s[0:1], s4, v34
	v_addc_co_u32_e64 v31, s[0:1], v35, v36, s[0:1]
	global_store_dwordx4 v[30:31], v[16:19], off
	v_add_co_u32_e64 v30, s[0:1], s4, v30
	v_mul_f64 v[16:17], v[24:25], s[2:3]
	v_mul_f64 v[18:19], v[26:27], s[2:3]
	ds_read_b128 v[24:27], v159 offset:7776
	v_fma_f64 v[10:11], v[8:9], v[22:23], -v[10:11]
	s_waitcnt lgkmcnt(1)
	v_mul_f64 v[22:23], v[2:3], v[6:7]
	v_mul_f64 v[2:3], v[2:3], v[4:5]
	v_fma_f64 v[20:21], v[8:9], v[20:21], v[28:29]
	s_waitcnt lgkmcnt(0)
	v_mul_f64 v[28:29], v[14:15], v[26:27]
	v_mul_f64 v[14:15], v[14:15], v[24:25]
	v_addc_co_u32_e64 v31, s[0:1], v31, v36, s[0:1]
	v_mul_f64 v[10:11], v[10:11], s[2:3]
	v_fma_f64 v[4:5], v[0:1], v[4:5], v[22:23]
	v_fma_f64 v[2:3], v[0:1], v[6:7], -v[2:3]
	v_mul_f64 v[8:9], v[20:21], s[2:3]
	v_fma_f64 v[6:7], v[12:13], v[24:25], v[28:29]
	v_fma_f64 v[12:13], v[12:13], v[26:27], -v[14:15]
	v_add_co_u32_e64 v14, s[0:1], s4, v30
	v_addc_co_u32_e64 v15, s[0:1], v31, v36, s[0:1]
	v_mul_f64 v[0:1], v[4:5], s[2:3]
	v_mul_f64 v[2:3], v[2:3], s[2:3]
	;; [unrolled: 1-line block ×4, first 2 shown]
	global_store_dwordx4 v[30:31], v[16:19], off
	global_store_dwordx4 v[14:15], v[8:11], off
	s_nop 0
	v_add_co_u32_e64 v8, s[0:1], s4, v14
	v_addc_co_u32_e64 v9, s[0:1], v15, v36, s[0:1]
	global_store_dwordx4 v[8:9], v[0:3], off
	s_nop 0
	v_add_co_u32_e64 v0, s[0:1], s4, v8
	v_addc_co_u32_e64 v1, s[0:1], v9, v36, s[0:1]
	global_store_dwordx4 v[0:1], v[4:7], off
	s_and_b64 exec, exec, vcc
	s_cbranch_execz .LBB0_15
; %bb.14:
	s_movk_i32 s0, 0x1000
	global_load_dwordx4 v[2:5], v[156:157], off offset:1008
	global_load_dwordx4 v[6:9], v[156:157], off offset:2304
	;; [unrolled: 1-line block ×3, first 2 shown]
	v_add_co_u32_e32 v46, vcc, s0, v156
	v_addc_co_u32_e32 v47, vcc, 0, v157, vcc
	global_load_dwordx4 v[14:17], v[46:47], off offset:800
	global_load_dwordx4 v[18:21], v[46:47], off offset:2096
	ds_read_b128 v[22:25], v159 offset:1008
	ds_read_b128 v[26:29], v159 offset:2304
	;; [unrolled: 1-line block ×4, first 2 shown]
	v_mov_b32_e32 v38, 0xffffe590
	v_mad_u64_u32 v[48:49], s[0:1], s8, v38, v[0:1]
	ds_read_b128 v[38:41], v159 offset:6192
	ds_read_b128 v[42:45], v159 offset:7488
	s_mul_i32 s6, s9, 0xffffe590
	s_sub_i32 s0, s6, s8
	v_mov_b32_e32 v64, s5
	v_add_u32_e32 v49, s0, v49
	v_add_co_u32_e32 v50, vcc, s4, v48
	v_addc_co_u32_e32 v51, vcc, v49, v64, vcc
	v_add_co_u32_e32 v52, vcc, s4, v50
	v_addc_co_u32_e32 v53, vcc, v51, v64, vcc
	v_add_co_u32_e32 v54, vcc, s4, v52
	v_addc_co_u32_e32 v55, vcc, v53, v64, vcc
	s_movk_i32 s0, 0x2000
	s_waitcnt vmcnt(4) lgkmcnt(5)
	v_mul_f64 v[0:1], v[24:25], v[4:5]
	v_mul_f64 v[4:5], v[22:23], v[4:5]
	s_waitcnt vmcnt(3) lgkmcnt(4)
	v_mul_f64 v[56:57], v[28:29], v[8:9]
	v_mul_f64 v[8:9], v[26:27], v[8:9]
	;; [unrolled: 3-line block ×5, first 2 shown]
	v_fma_f64 v[0:1], v[22:23], v[2:3], v[0:1]
	v_fma_f64 v[2:3], v[2:3], v[24:25], -v[4:5]
	v_fma_f64 v[4:5], v[26:27], v[6:7], v[56:57]
	v_fma_f64 v[6:7], v[6:7], v[28:29], -v[8:9]
	;; [unrolled: 2-line block ×5, first 2 shown]
	v_mul_f64 v[0:1], v[0:1], s[2:3]
	v_mul_f64 v[2:3], v[2:3], s[2:3]
	v_mul_f64 v[4:5], v[4:5], s[2:3]
	v_mul_f64 v[6:7], v[6:7], s[2:3]
	v_mul_f64 v[8:9], v[8:9], s[2:3]
	v_mul_f64 v[10:11], v[10:11], s[2:3]
	v_mul_f64 v[12:13], v[12:13], s[2:3]
	v_mul_f64 v[14:15], v[14:15], s[2:3]
	v_mul_f64 v[16:17], v[16:17], s[2:3]
	v_mul_f64 v[18:19], v[18:19], s[2:3]
	v_add_co_u32_e32 v20, vcc, s4, v54
	v_addc_co_u32_e32 v21, vcc, v55, v64, vcc
	global_store_dwordx4 v[48:49], v[0:3], off
	global_store_dwordx4 v[50:51], v[4:7], off
	;; [unrolled: 1-line block ×5, first 2 shown]
	global_load_dwordx4 v[0:3], v[46:47], off offset:3392
	s_waitcnt vmcnt(0) lgkmcnt(0)
	v_mul_f64 v[4:5], v[44:45], v[2:3]
	v_mul_f64 v[2:3], v[42:43], v[2:3]
	v_fma_f64 v[4:5], v[42:43], v[0:1], v[4:5]
	v_fma_f64 v[2:3], v[0:1], v[44:45], -v[2:3]
	v_mul_f64 v[0:1], v[4:5], s[2:3]
	v_mul_f64 v[2:3], v[2:3], s[2:3]
	v_add_co_u32_e32 v4, vcc, s0, v156
	v_addc_co_u32_e32 v5, vcc, 0, v157, vcc
	v_add_co_u32_e32 v8, vcc, s4, v20
	v_addc_co_u32_e32 v9, vcc, v21, v64, vcc
	global_store_dwordx4 v[8:9], v[0:3], off
	global_load_dwordx4 v[0:3], v[4:5], off offset:592
	ds_read_b128 v[4:7], v159 offset:8784
	s_waitcnt vmcnt(0) lgkmcnt(0)
	v_mul_f64 v[10:11], v[6:7], v[2:3]
	v_mul_f64 v[2:3], v[4:5], v[2:3]
	v_fma_f64 v[4:5], v[4:5], v[0:1], v[10:11]
	v_fma_f64 v[2:3], v[0:1], v[6:7], -v[2:3]
	v_mul_f64 v[0:1], v[4:5], s[2:3]
	v_mul_f64 v[2:3], v[2:3], s[2:3]
	v_add_co_u32_e32 v4, vcc, s4, v8
	v_addc_co_u32_e32 v5, vcc, v9, v64, vcc
	global_store_dwordx4 v[4:5], v[0:3], off
.LBB0_15:
	s_endpgm
	.section	.rodata,"a",@progbits
	.p2align	6, 0x0
	.amdhsa_kernel bluestein_single_back_len567_dim1_dp_op_CI_CI
		.amdhsa_group_segment_fixed_size 9072
		.amdhsa_private_segment_fixed_size 0
		.amdhsa_kernarg_size 104
		.amdhsa_user_sgpr_count 6
		.amdhsa_user_sgpr_private_segment_buffer 1
		.amdhsa_user_sgpr_dispatch_ptr 0
		.amdhsa_user_sgpr_queue_ptr 0
		.amdhsa_user_sgpr_kernarg_segment_ptr 1
		.amdhsa_user_sgpr_dispatch_id 0
		.amdhsa_user_sgpr_flat_scratch_init 0
		.amdhsa_user_sgpr_private_segment_size 0
		.amdhsa_uses_dynamic_stack 0
		.amdhsa_system_sgpr_private_segment_wavefront_offset 0
		.amdhsa_system_sgpr_workgroup_id_x 1
		.amdhsa_system_sgpr_workgroup_id_y 0
		.amdhsa_system_sgpr_workgroup_id_z 0
		.amdhsa_system_sgpr_workgroup_info 0
		.amdhsa_system_vgpr_workitem_id 0
		.amdhsa_next_free_vgpr 215
		.amdhsa_next_free_sgpr 36
		.amdhsa_reserve_vcc 1
		.amdhsa_reserve_flat_scratch 0
		.amdhsa_float_round_mode_32 0
		.amdhsa_float_round_mode_16_64 0
		.amdhsa_float_denorm_mode_32 3
		.amdhsa_float_denorm_mode_16_64 3
		.amdhsa_dx10_clamp 1
		.amdhsa_ieee_mode 1
		.amdhsa_fp16_overflow 0
		.amdhsa_exception_fp_ieee_invalid_op 0
		.amdhsa_exception_fp_denorm_src 0
		.amdhsa_exception_fp_ieee_div_zero 0
		.amdhsa_exception_fp_ieee_overflow 0
		.amdhsa_exception_fp_ieee_underflow 0
		.amdhsa_exception_fp_ieee_inexact 0
		.amdhsa_exception_int_div_zero 0
	.end_amdhsa_kernel
	.text
.Lfunc_end0:
	.size	bluestein_single_back_len567_dim1_dp_op_CI_CI, .Lfunc_end0-bluestein_single_back_len567_dim1_dp_op_CI_CI
                                        ; -- End function
	.section	.AMDGPU.csdata,"",@progbits
; Kernel info:
; codeLenInByte = 13064
; NumSgprs: 40
; NumVgprs: 215
; ScratchSize: 0
; MemoryBound: 0
; FloatMode: 240
; IeeeMode: 1
; LDSByteSize: 9072 bytes/workgroup (compile time only)
; SGPRBlocks: 4
; VGPRBlocks: 53
; NumSGPRsForWavesPerEU: 40
; NumVGPRsForWavesPerEU: 215
; Occupancy: 1
; WaveLimiterHint : 1
; COMPUTE_PGM_RSRC2:SCRATCH_EN: 0
; COMPUTE_PGM_RSRC2:USER_SGPR: 6
; COMPUTE_PGM_RSRC2:TRAP_HANDLER: 0
; COMPUTE_PGM_RSRC2:TGID_X_EN: 1
; COMPUTE_PGM_RSRC2:TGID_Y_EN: 0
; COMPUTE_PGM_RSRC2:TGID_Z_EN: 0
; COMPUTE_PGM_RSRC2:TIDIG_COMP_CNT: 0
	.type	__hip_cuid_9216790251362086,@object ; @__hip_cuid_9216790251362086
	.section	.bss,"aw",@nobits
	.globl	__hip_cuid_9216790251362086
__hip_cuid_9216790251362086:
	.byte	0                               ; 0x0
	.size	__hip_cuid_9216790251362086, 1

	.ident	"AMD clang version 19.0.0git (https://github.com/RadeonOpenCompute/llvm-project roc-6.4.0 25133 c7fe45cf4b819c5991fe208aaa96edf142730f1d)"
	.section	".note.GNU-stack","",@progbits
	.addrsig
	.addrsig_sym __hip_cuid_9216790251362086
	.amdgpu_metadata
---
amdhsa.kernels:
  - .args:
      - .actual_access:  read_only
        .address_space:  global
        .offset:         0
        .size:           8
        .value_kind:     global_buffer
      - .actual_access:  read_only
        .address_space:  global
        .offset:         8
        .size:           8
        .value_kind:     global_buffer
      - .actual_access:  read_only
        .address_space:  global
        .offset:         16
        .size:           8
        .value_kind:     global_buffer
      - .actual_access:  read_only
        .address_space:  global
        .offset:         24
        .size:           8
        .value_kind:     global_buffer
      - .actual_access:  read_only
        .address_space:  global
        .offset:         32
        .size:           8
        .value_kind:     global_buffer
      - .offset:         40
        .size:           8
        .value_kind:     by_value
      - .address_space:  global
        .offset:         48
        .size:           8
        .value_kind:     global_buffer
      - .address_space:  global
        .offset:         56
        .size:           8
        .value_kind:     global_buffer
      - .address_space:  global
        .offset:         64
        .size:           8
        .value_kind:     global_buffer
      - .address_space:  global
        .offset:         72
        .size:           8
        .value_kind:     global_buffer
      - .offset:         80
        .size:           4
        .value_kind:     by_value
      - .address_space:  global
        .offset:         88
        .size:           8
        .value_kind:     global_buffer
      - .address_space:  global
        .offset:         96
        .size:           8
        .value_kind:     global_buffer
    .group_segment_fixed_size: 9072
    .kernarg_segment_align: 8
    .kernarg_segment_size: 104
    .language:       OpenCL C
    .language_version:
      - 2
      - 0
    .max_flat_workgroup_size: 63
    .name:           bluestein_single_back_len567_dim1_dp_op_CI_CI
    .private_segment_fixed_size: 0
    .sgpr_count:     40
    .sgpr_spill_count: 0
    .symbol:         bluestein_single_back_len567_dim1_dp_op_CI_CI.kd
    .uniform_work_group_size: 1
    .uses_dynamic_stack: false
    .vgpr_count:     215
    .vgpr_spill_count: 0
    .wavefront_size: 64
amdhsa.target:   amdgcn-amd-amdhsa--gfx906
amdhsa.version:
  - 1
  - 2
...

	.end_amdgpu_metadata
